;; amdgpu-corpus repo=ROCm/rocFFT kind=compiled arch=gfx1201 opt=O3
	.text
	.amdgcn_target "amdgcn-amd-amdhsa--gfx1201"
	.amdhsa_code_object_version 6
	.protected	fft_rtc_fwd_len1782_factors_11_3_3_3_3_2_wgs_99_tpt_99_halfLds_dp_op_CI_CI_unitstride_sbrr_dirReg ; -- Begin function fft_rtc_fwd_len1782_factors_11_3_3_3_3_2_wgs_99_tpt_99_halfLds_dp_op_CI_CI_unitstride_sbrr_dirReg
	.globl	fft_rtc_fwd_len1782_factors_11_3_3_3_3_2_wgs_99_tpt_99_halfLds_dp_op_CI_CI_unitstride_sbrr_dirReg
	.p2align	8
	.type	fft_rtc_fwd_len1782_factors_11_3_3_3_3_2_wgs_99_tpt_99_halfLds_dp_op_CI_CI_unitstride_sbrr_dirReg,@function
fft_rtc_fwd_len1782_factors_11_3_3_3_3_2_wgs_99_tpt_99_halfLds_dp_op_CI_CI_unitstride_sbrr_dirReg: ; @fft_rtc_fwd_len1782_factors_11_3_3_3_3_2_wgs_99_tpt_99_halfLds_dp_op_CI_CI_unitstride_sbrr_dirReg
; %bb.0:
	s_clause 0x2
	s_load_b128 s[8:11], s[0:1], 0x0
	s_load_b128 s[4:7], s[0:1], 0x58
	;; [unrolled: 1-line block ×3, first 2 shown]
	v_mul_u32_u24_e32 v1, 0x296, v0
	v_mov_b32_e32 v4, 0
	v_mov_b32_e32 v5, 0
	s_delay_alu instid0(VALU_DEP_3) | instskip(NEXT) | instid1(VALU_DEP_1)
	v_lshrrev_b32_e32 v2, 16, v1
	v_dual_mov_b32 v1, 0 :: v_dual_add_nc_u32 v6, ttmp9, v2
	s_delay_alu instid0(VALU_DEP_1) | instskip(SKIP_2) | instid1(VALU_DEP_1)
	v_mov_b32_e32 v7, v1
	s_wait_kmcnt 0x0
	v_cmp_lt_u64_e64 s2, s[10:11], 2
	s_and_b32 vcc_lo, exec_lo, s2
	s_cbranch_vccnz .LBB0_8
; %bb.1:
	s_load_b64 s[2:3], s[0:1], 0x10
	v_mov_b32_e32 v4, 0
	v_mov_b32_e32 v5, 0
	s_add_nc_u64 s[16:17], s[14:15], 8
	s_add_nc_u64 s[18:19], s[12:13], 8
	s_mov_b64 s[20:21], 1
	s_delay_alu instid0(VALU_DEP_1)
	v_dual_mov_b32 v89, v5 :: v_dual_mov_b32 v88, v4
	s_wait_kmcnt 0x0
	s_add_nc_u64 s[22:23], s[2:3], 8
	s_mov_b32 s3, 0
.LBB0_2:                                ; =>This Inner Loop Header: Depth=1
	s_load_b64 s[24:25], s[22:23], 0x0
                                        ; implicit-def: $vgpr92_vgpr93
	s_mov_b32 s2, exec_lo
	s_wait_kmcnt 0x0
	v_or_b32_e32 v2, s25, v7
	s_delay_alu instid0(VALU_DEP_1)
	v_cmpx_ne_u64_e32 0, v[1:2]
	s_wait_alu 0xfffe
	s_xor_b32 s26, exec_lo, s2
	s_cbranch_execz .LBB0_4
; %bb.3:                                ;   in Loop: Header=BB0_2 Depth=1
	s_cvt_f32_u32 s2, s24
	s_cvt_f32_u32 s27, s25
	s_sub_nc_u64 s[30:31], 0, s[24:25]
	s_wait_alu 0xfffe
	s_delay_alu instid0(SALU_CYCLE_1) | instskip(SKIP_1) | instid1(SALU_CYCLE_2)
	s_fmamk_f32 s2, s27, 0x4f800000, s2
	s_wait_alu 0xfffe
	v_s_rcp_f32 s2, s2
	s_delay_alu instid0(TRANS32_DEP_1) | instskip(SKIP_1) | instid1(SALU_CYCLE_2)
	s_mul_f32 s2, s2, 0x5f7ffffc
	s_wait_alu 0xfffe
	s_mul_f32 s27, s2, 0x2f800000
	s_wait_alu 0xfffe
	s_delay_alu instid0(SALU_CYCLE_2) | instskip(SKIP_1) | instid1(SALU_CYCLE_2)
	s_trunc_f32 s27, s27
	s_wait_alu 0xfffe
	s_fmamk_f32 s2, s27, 0xcf800000, s2
	s_cvt_u32_f32 s29, s27
	s_wait_alu 0xfffe
	s_delay_alu instid0(SALU_CYCLE_1) | instskip(SKIP_1) | instid1(SALU_CYCLE_2)
	s_cvt_u32_f32 s28, s2
	s_wait_alu 0xfffe
	s_mul_u64 s[34:35], s[30:31], s[28:29]
	s_wait_alu 0xfffe
	s_mul_hi_u32 s37, s28, s35
	s_mul_i32 s36, s28, s35
	s_mul_hi_u32 s2, s28, s34
	s_mul_i32 s33, s29, s34
	s_wait_alu 0xfffe
	s_add_nc_u64 s[36:37], s[2:3], s[36:37]
	s_mul_hi_u32 s27, s29, s34
	s_mul_hi_u32 s38, s29, s35
	s_add_co_u32 s2, s36, s33
	s_wait_alu 0xfffe
	s_add_co_ci_u32 s2, s37, s27
	s_mul_i32 s34, s29, s35
	s_add_co_ci_u32 s35, s38, 0
	s_wait_alu 0xfffe
	s_add_nc_u64 s[34:35], s[2:3], s[34:35]
	s_wait_alu 0xfffe
	v_add_co_u32 v2, s2, s28, s34
	s_delay_alu instid0(VALU_DEP_1) | instskip(SKIP_1) | instid1(VALU_DEP_1)
	s_cmp_lg_u32 s2, 0
	s_add_co_ci_u32 s29, s29, s35
	v_readfirstlane_b32 s28, v2
	s_wait_alu 0xfffe
	s_delay_alu instid0(VALU_DEP_1)
	s_mul_u64 s[30:31], s[30:31], s[28:29]
	s_wait_alu 0xfffe
	s_mul_hi_u32 s35, s28, s31
	s_mul_i32 s34, s28, s31
	s_mul_hi_u32 s2, s28, s30
	s_mul_i32 s33, s29, s30
	s_wait_alu 0xfffe
	s_add_nc_u64 s[34:35], s[2:3], s[34:35]
	s_mul_hi_u32 s27, s29, s30
	s_mul_hi_u32 s28, s29, s31
	s_wait_alu 0xfffe
	s_add_co_u32 s2, s34, s33
	s_add_co_ci_u32 s2, s35, s27
	s_mul_i32 s30, s29, s31
	s_add_co_ci_u32 s31, s28, 0
	s_wait_alu 0xfffe
	s_add_nc_u64 s[30:31], s[2:3], s[30:31]
	s_wait_alu 0xfffe
	v_add_co_u32 v8, s2, v2, s30
	s_delay_alu instid0(VALU_DEP_1) | instskip(SKIP_1) | instid1(VALU_DEP_1)
	s_cmp_lg_u32 s2, 0
	s_add_co_ci_u32 s2, s29, s31
	v_mul_hi_u32 v12, v6, v8
	s_wait_alu 0xfffe
	v_mad_co_u64_u32 v[2:3], null, v6, s2, 0
	v_mad_co_u64_u32 v[8:9], null, v7, v8, 0
	;; [unrolled: 1-line block ×3, first 2 shown]
	s_delay_alu instid0(VALU_DEP_3) | instskip(SKIP_1) | instid1(VALU_DEP_4)
	v_add_co_u32 v2, vcc_lo, v12, v2
	s_wait_alu 0xfffd
	v_add_co_ci_u32_e32 v3, vcc_lo, 0, v3, vcc_lo
	s_delay_alu instid0(VALU_DEP_2) | instskip(SKIP_1) | instid1(VALU_DEP_2)
	v_add_co_u32 v2, vcc_lo, v2, v8
	s_wait_alu 0xfffd
	v_add_co_ci_u32_e32 v2, vcc_lo, v3, v9, vcc_lo
	s_wait_alu 0xfffd
	v_add_co_ci_u32_e32 v3, vcc_lo, 0, v11, vcc_lo
	s_delay_alu instid0(VALU_DEP_2) | instskip(SKIP_1) | instid1(VALU_DEP_2)
	v_add_co_u32 v8, vcc_lo, v2, v10
	s_wait_alu 0xfffd
	v_add_co_ci_u32_e32 v9, vcc_lo, 0, v3, vcc_lo
	s_delay_alu instid0(VALU_DEP_2) | instskip(SKIP_1) | instid1(VALU_DEP_3)
	v_mul_lo_u32 v10, s25, v8
	v_mad_co_u64_u32 v[2:3], null, s24, v8, 0
	v_mul_lo_u32 v11, s24, v9
	s_delay_alu instid0(VALU_DEP_2) | instskip(NEXT) | instid1(VALU_DEP_2)
	v_sub_co_u32 v2, vcc_lo, v6, v2
	v_add3_u32 v3, v3, v11, v10
	s_delay_alu instid0(VALU_DEP_1) | instskip(SKIP_1) | instid1(VALU_DEP_1)
	v_sub_nc_u32_e32 v10, v7, v3
	s_wait_alu 0xfffd
	v_subrev_co_ci_u32_e64 v10, s2, s25, v10, vcc_lo
	v_add_co_u32 v11, s2, v8, 2
	s_wait_alu 0xf1ff
	v_add_co_ci_u32_e64 v12, s2, 0, v9, s2
	v_sub_co_u32 v13, s2, v2, s24
	v_sub_co_ci_u32_e32 v3, vcc_lo, v7, v3, vcc_lo
	s_wait_alu 0xf1ff
	v_subrev_co_ci_u32_e64 v10, s2, 0, v10, s2
	s_delay_alu instid0(VALU_DEP_3) | instskip(NEXT) | instid1(VALU_DEP_3)
	v_cmp_le_u32_e32 vcc_lo, s24, v13
	v_cmp_eq_u32_e64 s2, s25, v3
	s_wait_alu 0xfffd
	v_cndmask_b32_e64 v13, 0, -1, vcc_lo
	v_cmp_le_u32_e32 vcc_lo, s25, v10
	s_wait_alu 0xfffd
	v_cndmask_b32_e64 v14, 0, -1, vcc_lo
	v_cmp_le_u32_e32 vcc_lo, s24, v2
	;; [unrolled: 3-line block ×3, first 2 shown]
	s_wait_alu 0xfffd
	v_cndmask_b32_e64 v15, 0, -1, vcc_lo
	v_cmp_eq_u32_e32 vcc_lo, s25, v10
	s_wait_alu 0xf1ff
	s_delay_alu instid0(VALU_DEP_2)
	v_cndmask_b32_e64 v2, v15, v2, s2
	s_wait_alu 0xfffd
	v_cndmask_b32_e32 v10, v14, v13, vcc_lo
	v_add_co_u32 v13, vcc_lo, v8, 1
	s_wait_alu 0xfffd
	v_add_co_ci_u32_e32 v14, vcc_lo, 0, v9, vcc_lo
	s_delay_alu instid0(VALU_DEP_3) | instskip(SKIP_1) | instid1(VALU_DEP_2)
	v_cmp_ne_u32_e32 vcc_lo, 0, v10
	s_wait_alu 0xfffd
	v_dual_cndmask_b32 v3, v14, v12 :: v_dual_cndmask_b32 v10, v13, v11
	v_cmp_ne_u32_e32 vcc_lo, 0, v2
	s_wait_alu 0xfffd
	s_delay_alu instid0(VALU_DEP_2)
	v_dual_cndmask_b32 v93, v9, v3 :: v_dual_cndmask_b32 v92, v8, v10
.LBB0_4:                                ;   in Loop: Header=BB0_2 Depth=1
	s_wait_alu 0xfffe
	s_and_not1_saveexec_b32 s2, s26
	s_cbranch_execz .LBB0_6
; %bb.5:                                ;   in Loop: Header=BB0_2 Depth=1
	v_cvt_f32_u32_e32 v2, s24
	s_sub_co_i32 s26, 0, s24
	v_mov_b32_e32 v93, v1
	s_delay_alu instid0(VALU_DEP_2) | instskip(NEXT) | instid1(TRANS32_DEP_1)
	v_rcp_iflag_f32_e32 v2, v2
	v_mul_f32_e32 v2, 0x4f7ffffe, v2
	s_delay_alu instid0(VALU_DEP_1) | instskip(SKIP_1) | instid1(VALU_DEP_1)
	v_cvt_u32_f32_e32 v2, v2
	s_wait_alu 0xfffe
	v_mul_lo_u32 v3, s26, v2
	s_delay_alu instid0(VALU_DEP_1) | instskip(NEXT) | instid1(VALU_DEP_1)
	v_mul_hi_u32 v3, v2, v3
	v_add_nc_u32_e32 v2, v2, v3
	s_delay_alu instid0(VALU_DEP_1) | instskip(NEXT) | instid1(VALU_DEP_1)
	v_mul_hi_u32 v2, v6, v2
	v_mul_lo_u32 v3, v2, s24
	v_add_nc_u32_e32 v8, 1, v2
	s_delay_alu instid0(VALU_DEP_2) | instskip(NEXT) | instid1(VALU_DEP_1)
	v_sub_nc_u32_e32 v3, v6, v3
	v_subrev_nc_u32_e32 v9, s24, v3
	v_cmp_le_u32_e32 vcc_lo, s24, v3
	s_wait_alu 0xfffd
	s_delay_alu instid0(VALU_DEP_2) | instskip(NEXT) | instid1(VALU_DEP_1)
	v_dual_cndmask_b32 v3, v3, v9 :: v_dual_cndmask_b32 v2, v2, v8
	v_cmp_le_u32_e32 vcc_lo, s24, v3
	s_delay_alu instid0(VALU_DEP_2) | instskip(SKIP_1) | instid1(VALU_DEP_1)
	v_add_nc_u32_e32 v8, 1, v2
	s_wait_alu 0xfffd
	v_cndmask_b32_e32 v92, v2, v8, vcc_lo
.LBB0_6:                                ;   in Loop: Header=BB0_2 Depth=1
	s_wait_alu 0xfffe
	s_or_b32 exec_lo, exec_lo, s2
	v_mul_lo_u32 v8, v93, s24
	s_delay_alu instid0(VALU_DEP_2)
	v_mul_lo_u32 v9, v92, s25
	s_load_b64 s[26:27], s[18:19], 0x0
	v_mad_co_u64_u32 v[2:3], null, v92, s24, 0
	s_load_b64 s[24:25], s[16:17], 0x0
	s_add_nc_u64 s[20:21], s[20:21], 1
	s_add_nc_u64 s[16:17], s[16:17], 8
	s_wait_alu 0xfffe
	v_cmp_ge_u64_e64 s2, s[20:21], s[10:11]
	s_add_nc_u64 s[18:19], s[18:19], 8
	s_add_nc_u64 s[22:23], s[22:23], 8
	v_add3_u32 v3, v3, v9, v8
	v_sub_co_u32 v2, vcc_lo, v6, v2
	s_wait_alu 0xfffd
	s_delay_alu instid0(VALU_DEP_2) | instskip(SKIP_2) | instid1(VALU_DEP_1)
	v_sub_co_ci_u32_e32 v3, vcc_lo, v7, v3, vcc_lo
	s_and_b32 vcc_lo, exec_lo, s2
	s_wait_kmcnt 0x0
	v_mul_lo_u32 v6, s26, v3
	v_mul_lo_u32 v7, s27, v2
	v_mad_co_u64_u32 v[4:5], null, s26, v2, v[4:5]
	v_mul_lo_u32 v3, s24, v3
	v_mul_lo_u32 v8, s25, v2
	v_mad_co_u64_u32 v[88:89], null, s24, v2, v[88:89]
	s_delay_alu instid0(VALU_DEP_4) | instskip(NEXT) | instid1(VALU_DEP_2)
	v_add3_u32 v5, v7, v5, v6
	v_add3_u32 v89, v8, v89, v3
	s_wait_alu 0xfffe
	s_cbranch_vccnz .LBB0_9
; %bb.7:                                ;   in Loop: Header=BB0_2 Depth=1
	v_dual_mov_b32 v6, v92 :: v_dual_mov_b32 v7, v93
	s_branch .LBB0_2
.LBB0_8:
	v_dual_mov_b32 v89, v5 :: v_dual_mov_b32 v88, v4
	v_dual_mov_b32 v93, v7 :: v_dual_mov_b32 v92, v6
.LBB0_9:
	s_load_b64 s[0:1], s[0:1], 0x28
	v_mul_hi_u32 v1, 0x295fad5, v0
	s_lshl_b64 s[10:11], s[10:11], 3
                                        ; implicit-def: $vgpr90
	s_wait_alu 0xfffe
	s_add_nc_u64 s[2:3], s[14:15], s[10:11]
	s_wait_kmcnt 0x0
	v_cmp_gt_u64_e32 vcc_lo, s[0:1], v[92:93]
	v_cmp_le_u64_e64 s0, s[0:1], v[92:93]
	s_delay_alu instid0(VALU_DEP_1)
	s_and_saveexec_b32 s1, s0
	s_wait_alu 0xfffe
	s_xor_b32 s0, exec_lo, s1
; %bb.10:
	v_mul_u32_u24_e32 v1, 0x63, v1
                                        ; implicit-def: $vgpr4_vgpr5
	s_delay_alu instid0(VALU_DEP_1)
	v_sub_nc_u32_e32 v90, v0, v1
                                        ; implicit-def: $vgpr1
                                        ; implicit-def: $vgpr0
; %bb.11:
	s_wait_alu 0xfffe
	s_or_saveexec_b32 s1, s0
	s_load_b64 s[2:3], s[2:3], 0x0
                                        ; implicit-def: $vgpr6_vgpr7
                                        ; implicit-def: $vgpr2_vgpr3
                                        ; implicit-def: $vgpr10_vgpr11
                                        ; implicit-def: $vgpr26_vgpr27
                                        ; implicit-def: $vgpr22_vgpr23
                                        ; implicit-def: $vgpr18_vgpr19
                                        ; implicit-def: $vgpr30_vgpr31
                                        ; implicit-def: $vgpr34_vgpr35
                                        ; implicit-def: $vgpr38_vgpr39
                                        ; implicit-def: $vgpr42_vgpr43
                                        ; implicit-def: $vgpr14_vgpr15
                                        ; implicit-def: $vgpr46_vgpr47
                                        ; implicit-def: $vgpr50_vgpr51
                                        ; implicit-def: $vgpr54_vgpr55
                                        ; implicit-def: $vgpr66_vgpr67
                                        ; implicit-def: $vgpr62_vgpr63
                                        ; implicit-def: $vgpr58_vgpr59
                                        ; implicit-def: $vgpr74_vgpr75
                                        ; implicit-def: $vgpr78_vgpr79
                                        ; implicit-def: $vgpr82_vgpr83
                                        ; implicit-def: $vgpr86_vgpr87
                                        ; implicit-def: $vgpr70_vgpr71
	s_xor_b32 exec_lo, exec_lo, s1
	s_cbranch_execz .LBB0_15
; %bb.12:
	s_add_nc_u64 s[10:11], s[12:13], s[10:11]
                                        ; implicit-def: $vgpr12_vgpr13
                                        ; implicit-def: $vgpr40_vgpr41
                                        ; implicit-def: $vgpr36_vgpr37
                                        ; implicit-def: $vgpr32_vgpr33
                                        ; implicit-def: $vgpr28_vgpr29
                                        ; implicit-def: $vgpr16_vgpr17
                                        ; implicit-def: $vgpr20_vgpr21
                                        ; implicit-def: $vgpr24_vgpr25
                                        ; implicit-def: $vgpr8_vgpr9
	s_load_b64 s[10:11], s[10:11], 0x0
	s_wait_kmcnt 0x0
	v_mul_lo_u32 v6, s11, v92
	v_mul_lo_u32 v7, s10, v93
	v_mad_co_u64_u32 v[2:3], null, s10, v92, 0
	s_delay_alu instid0(VALU_DEP_1) | instskip(SKIP_1) | instid1(VALU_DEP_2)
	v_add3_u32 v3, v3, v7, v6
	v_mul_u32_u24_e32 v6, 0x63, v1
	v_lshlrev_b64_e32 v[1:2], 4, v[2:3]
	v_lshlrev_b64_e32 v[3:4], 4, v[4:5]
	s_delay_alu instid0(VALU_DEP_3) | instskip(NEXT) | instid1(VALU_DEP_3)
	v_sub_nc_u32_e32 v90, v0, v6
	v_add_co_u32 v0, s0, s4, v1
	s_wait_alu 0xf1ff
	s_delay_alu instid0(VALU_DEP_4) | instskip(NEXT) | instid1(VALU_DEP_3)
	v_add_co_ci_u32_e64 v1, s0, s5, v2, s0
	v_lshlrev_b32_e32 v2, 4, v90
	s_delay_alu instid0(VALU_DEP_3) | instskip(SKIP_1) | instid1(VALU_DEP_3)
	v_add_co_u32 v0, s0, v0, v3
	s_wait_alu 0xf1ff
	v_add_co_ci_u32_e64 v1, s0, v1, v4, s0
	s_mov_b32 s4, exec_lo
	s_delay_alu instid0(VALU_DEP_2) | instskip(SKIP_1) | instid1(VALU_DEP_2)
	v_add_co_u32 v6, s0, v0, v2
	s_wait_alu 0xf1ff
	v_add_co_ci_u32_e64 v7, s0, 0, v1, s0
                                        ; implicit-def: $vgpr0_vgpr1
                                        ; implicit-def: $vgpr4_vgpr5
	s_clause 0xa
	global_load_b128 v[68:71], v[6:7], off
	global_load_b128 v[84:87], v[6:7], off offset:2592
	global_load_b128 v[80:83], v[6:7], off offset:5184
	;; [unrolled: 1-line block ×10, first 2 shown]
	v_cmpx_gt_u32_e32 63, v90
; %bb.13:
	s_clause 0xa
	global_load_b128 v[12:15], v[6:7], off offset:1584
	global_load_b128 v[40:43], v[6:7], off offset:4176
	;; [unrolled: 1-line block ×11, first 2 shown]
; %bb.14:
	s_wait_alu 0xfffe
	s_or_b32 exec_lo, exec_lo, s4
.LBB0_15:
	s_delay_alu instid0(SALU_CYCLE_1)
	s_or_b32 exec_lo, exec_lo, s1
	s_wait_loadcnt 0x9
	v_add_f64_e32 v[94:95], v[84:85], v[68:69]
	s_wait_loadcnt 0x0
	v_add_f64_e32 v[96:97], v[44:45], v[84:85]
	s_mov_b32 s12, 0x8764f0ba
	s_mov_b32 s4, 0xd9c712b6
	;; [unrolled: 1-line block ×9, first 2 shown]
	v_add_f64_e32 v[98:99], v[48:49], v[80:81]
	v_add_f64_e64 v[100:101], v[86:87], -v[46:47]
	s_mov_b32 s11, 0xbfc2375f
	s_mov_b32 s24, 0xf8bb580b
	;; [unrolled: 1-line block ×11, first 2 shown]
	s_wait_alu 0xfffe
	s_mov_b32 s36, s20
	s_mov_b32 s22, s0
	;; [unrolled: 1-line block ×5, first 2 shown]
	v_add_f64_e32 v[110:111], v[52:53], v[76:77]
	v_add_f64_e64 v[112:113], v[82:83], -v[50:51]
	s_mov_b32 s31, 0x3fefac9e
	s_mov_b32 s19, 0xbfefac9e
	s_wait_alu 0xfffe
	s_mov_b32 s18, s30
	s_mov_b32 s29, 0xbfe14ced
	;; [unrolled: 1-line block ×3, first 2 shown]
	v_add_f64_e32 v[132:133], v[64:65], v[72:73]
	v_add_f64_e32 v[94:95], v[80:81], v[94:95]
	v_mul_f64_e32 v[102:103], s[12:13], v[96:97]
	v_mul_f64_e32 v[104:105], s[4:5], v[96:97]
	;; [unrolled: 1-line block ×17, first 2 shown]
	v_add_f64_e32 v[94:95], v[76:77], v[94:95]
	v_fma_f64 v[122:123], v[100:101], s[24:25], v[102:103]
	v_fma_f64 v[124:125], v[100:101], s[20:21], v[104:105]
	;; [unrolled: 1-line block ×9, first 2 shown]
	s_wait_alu 0xfffe
	v_fma_f64 v[100:101], v[100:101], s[28:29], v[102:103]
	v_add_f64_e64 v[102:103], v[78:79], -v[54:55]
	v_fma_f64 v[142:143], v[112:113], s[20:21], v[114:115]
	v_fma_f64 v[114:115], v[112:113], s[36:37], v[114:115]
	v_fma_f64 v[144:145], v[112:113], s[0:1], v[116:117]
	v_fma_f64 v[116:117], v[112:113], s[22:23], v[116:117]
	v_fma_f64 v[146:147], v[112:113], s[26:27], v[118:119]
	v_fma_f64 v[118:119], v[112:113], s[34:35], v[118:119]
	v_fma_f64 v[148:149], v[112:113], s[18:19], v[120:121]
	v_fma_f64 v[120:121], v[112:113], s[30:31], v[120:121]
	v_fma_f64 v[150:151], v[112:113], s[28:29], v[98:99]
	v_fma_f64 v[98:99], v[112:113], s[24:25], v[98:99]
	v_mul_f64_e32 v[156:157], s[12:13], v[132:133]
	v_mul_f64_e32 v[158:159], s[16:17], v[132:133]
	v_mul_f64_e32 v[132:133], s[4:5], v[132:133]
	v_add_f64_e32 v[94:95], v[72:73], v[94:95]
	v_add_f64_e32 v[112:113], v[68:69], v[122:123]
	;; [unrolled: 1-line block ×11, first 2 shown]
	v_add_f64_e64 v[100:101], v[74:75], -v[66:67]
	v_add_f64_e32 v[130:131], v[60:61], v[56:57]
	v_fma_f64 v[160:161], v[102:103], s[30:31], v[134:135]
	v_fma_f64 v[134:135], v[102:103], s[18:19], v[134:135]
	;; [unrolled: 1-line block ×10, first 2 shown]
	v_add_f64_e32 v[94:95], v[56:57], v[94:95]
	v_add_f64_e32 v[110:111], v[142:143], v[112:113]
	;; [unrolled: 1-line block ×11, first 2 shown]
	v_add_f64_e64 v[114:115], v[58:59], -v[62:63]
	v_mul_f64_e32 v[118:119], s[16:17], v[130:131]
	v_mul_f64_e32 v[122:123], s[12:13], v[130:131]
	;; [unrolled: 1-line block ×5, first 2 shown]
	v_fma_f64 v[130:131], v[100:101], s[0:1], v[152:153]
	v_fma_f64 v[142:143], v[100:101], s[22:23], v[152:153]
	;; [unrolled: 1-line block ×10, first 2 shown]
	v_add_f64_e32 v[94:95], v[60:61], v[94:95]
	v_add_f64_e32 v[110:111], v[160:161], v[110:111]
	;; [unrolled: 1-line block ×11, first 2 shown]
	v_fma_f64 v[108:109], v[114:115], s[34:35], v[118:119]
	v_fma_f64 v[132:133], v[114:115], s[28:29], v[122:123]
	;; [unrolled: 1-line block ×10, first 2 shown]
	v_cmp_gt_u32_e64 s0, 63, v90
	v_add_f64_e32 v[94:95], v[64:65], v[94:95]
	v_add_f64_e32 v[110:111], v[130:131], v[110:111]
	v_add_f64_e32 v[112:113], v[144:145], v[112:113]
	v_add_f64_e32 v[104:105], v[146:147], v[104:105]
	v_add_f64_e32 v[116:117], v[152:153], v[116:117]
	v_add_f64_e32 v[106:107], v[154:155], v[106:107]
	v_add_f64_e32 v[120:121], v[156:157], v[120:121]
	v_add_f64_e32 v[98:99], v[100:101], v[98:99]
	v_add_f64_e32 v[100:101], v[148:149], v[102:103]
	v_add_f64_e32 v[96:97], v[150:151], v[96:97]
	v_add_f64_e32 v[68:69], v[142:143], v[68:69]
	v_add_f64_e32 v[94:95], v[52:53], v[94:95]
	v_add_f64_e32 v[102:103], v[108:109], v[110:111]
	v_add_f64_e32 v[108:109], v[132:133], v[112:113]
	v_add_f64_e32 v[104:105], v[122:123], v[104:105]
	v_add_f64_e32 v[110:111], v[136:137], v[116:117]
	v_add_f64_e32 v[106:107], v[126:127], v[106:107]
	v_add_f64_e32 v[112:113], v[138:139], v[120:121]
	v_add_f64_e32 v[98:99], v[114:115], v[98:99]
	v_add_f64_e32 v[100:101], v[134:135], v[100:101]
	v_add_f64_e32 v[68:69], v[118:119], v[68:69]
	v_add_f64_e32 v[94:95], v[48:49], v[94:95]
	s_delay_alu instid0(VALU_DEP_1)
	v_add_f64_e32 v[114:115], v[44:45], v[94:95]
	v_add_f64_e32 v[95:96], v[124:125], v[96:97]
	v_mad_u32_u24 v94, 0x58, v90, 0
	ds_store_2addr_b64 v94, v[110:111], v[112:113] offset0:4 offset1:5
	ds_store_2addr_b64 v94, v[98:99], v[106:107] offset0:6 offset1:7
	;; [unrolled: 1-line block ×3, first 2 shown]
	ds_store_2addr_b64 v94, v[114:115], v[102:103] offset1:1
	ds_store_2addr_b64 v94, v[95:96], v[104:105] offset0:8 offset1:9
	ds_store_b64 v94, v[68:69] offset:80
	s_and_saveexec_b32 s1, s0
	s_cbranch_execz .LBB0_17
; %bb.16:
	v_add_f64_e32 v[68:69], v[40:41], v[12:13]
	v_add_f64_e64 v[95:96], v[42:43], -v[6:7]
	v_add_f64_e64 v[97:98], v[38:39], -v[2:3]
	v_add_f64_e32 v[99:100], v[4:5], v[40:41]
	v_add_f64_e64 v[109:110], v[34:35], -v[10:11]
	v_add_f64_e32 v[111:112], v[0:1], v[36:37]
	v_add_f64_e32 v[131:132], v[8:9], v[32:33]
	v_add_nc_u32_e32 v91, 0x2218, v94
	v_add_f64_e32 v[68:69], v[36:37], v[68:69]
	v_mul_f64_e32 v[101:102], s[26:27], v[95:96]
	v_mul_f64_e32 v[103:104], s[22:23], v[95:96]
	;; [unrolled: 1-line block ×15, first 2 shown]
	v_add_f64_e32 v[68:69], v[32:33], v[68:69]
	v_fma_f64 v[121:122], v[99:100], s[16:17], v[101:102]
	v_fma_f64 v[101:102], v[99:100], s[16:17], -v[101:102]
	v_fma_f64 v[123:124], v[99:100], s[14:15], v[103:104]
	v_fma_f64 v[103:104], v[99:100], s[14:15], -v[103:104]
	v_fma_f64 v[125:126], v[99:100], s[10:11], -v[105:106]
	;; [unrolled: 1-line block ×3, first 2 shown]
	v_fma_f64 v[105:106], v[99:100], s[10:11], v[105:106]
	v_fma_f64 v[107:108], v[99:100], s[4:5], v[107:108]
	v_fma_f64 v[129:130], v[99:100], s[12:13], -v[95:96]
	v_fma_f64 v[95:96], v[99:100], s[12:13], v[95:96]
	v_add_f64_e64 v[99:100], v[30:31], -v[26:27]
	v_fma_f64 v[141:142], v[111:112], s[12:13], v[113:114]
	v_fma_f64 v[113:114], v[111:112], s[12:13], -v[113:114]
	v_fma_f64 v[143:144], v[111:112], s[10:11], v[115:116]
	v_fma_f64 v[115:116], v[111:112], s[10:11], -v[115:116]
	;; [unrolled: 2-line block ×5, first 2 shown]
	v_fma_f64 v[159:160], v[131:132], s[14:15], v[133:134]
	v_fma_f64 v[161:162], v[131:132], s[12:13], v[135:136]
	;; [unrolled: 1-line block ×3, first 2 shown]
	v_fma_f64 v[137:138], v[131:132], s[4:5], -v[137:138]
	v_fma_f64 v[165:166], v[131:132], s[16:17], v[139:140]
	v_fma_f64 v[139:140], v[131:132], s[16:17], -v[139:140]
	v_fma_f64 v[133:134], v[131:132], s[14:15], -v[133:134]
	;; [unrolled: 1-line block ×3, first 2 shown]
	v_fma_f64 v[167:168], v[131:132], s[10:11], v[109:110]
	v_fma_f64 v[109:110], v[131:132], s[10:11], -v[109:110]
	v_add_f64_e32 v[68:69], v[28:29], v[68:69]
	v_add_f64_e32 v[111:112], v[12:13], v[121:122]
	v_add_f64_e32 v[101:102], v[12:13], v[101:102]
	v_add_f64_e32 v[121:122], v[12:13], v[123:124]
	v_add_f64_e32 v[103:104], v[12:13], v[103:104]
	v_add_f64_e32 v[123:124], v[12:13], v[125:126]
	v_add_f64_e32 v[125:126], v[12:13], v[127:128]
	v_add_f64_e32 v[105:106], v[12:13], v[105:106]
	v_add_f64_e32 v[107:108], v[12:13], v[107:108]
	v_add_f64_e32 v[127:128], v[12:13], v[129:130]
	v_add_f64_e32 v[12:13], v[12:13], v[95:96]
	v_add_f64_e64 v[95:96], v[18:19], -v[22:23]
	v_add_f64_e32 v[129:130], v[24:25], v[28:29]
	v_mul_f64_e32 v[151:152], s[20:21], v[99:100]
	v_mul_f64_e32 v[153:154], s[26:27], v[99:100]
	;; [unrolled: 1-line block ×5, first 2 shown]
	v_add_f64_e32 v[68:69], v[16:17], v[68:69]
	v_add_f64_e32 v[111:112], v[141:142], v[111:112]
	;; [unrolled: 1-line block ×12, first 2 shown]
	v_mul_f64_e32 v[121:122], s[18:19], v[95:96]
	v_mul_f64_e32 v[123:124], s[20:21], v[95:96]
	;; [unrolled: 1-line block ×4, first 2 shown]
	v_fma_f64 v[131:132], v[129:130], s[4:5], v[151:152]
	v_fma_f64 v[143:144], v[129:130], s[16:17], v[153:154]
	v_fma_f64 v[145:146], v[129:130], s[16:17], -v[153:154]
	v_fma_f64 v[149:150], v[129:130], s[12:13], -v[155:156]
	;; [unrolled: 1-line block ×4, first 2 shown]
	v_fma_f64 v[147:148], v[129:130], s[12:13], v[155:156]
	v_fma_f64 v[151:152], v[129:130], s[10:11], v[157:158]
	v_mul_f64_e32 v[95:96], s[26:27], v[95:96]
	v_fma_f64 v[155:156], v[129:130], s[14:15], v[99:100]
	v_fma_f64 v[99:100], v[129:130], s[14:15], -v[99:100]
	v_add_f64_e32 v[68:69], v[20:21], v[68:69]
	v_add_f64_e32 v[111:112], v[159:160], v[111:112]
	;; [unrolled: 1-line block ×11, first 2 shown]
	v_fma_f64 v[109:110], v[119:120], s[10:11], v[121:122]
	v_fma_f64 v[129:130], v[119:120], s[4:5], v[123:124]
	;; [unrolled: 1-line block ×3, first 2 shown]
	v_fma_f64 v[125:126], v[119:120], s[14:15], -v[125:126]
	v_fma_f64 v[135:136], v[119:120], s[12:13], v[127:128]
	v_fma_f64 v[127:128], v[119:120], s[12:13], -v[127:128]
	v_fma_f64 v[121:122], v[119:120], s[10:11], -v[121:122]
	;; [unrolled: 1-line block ×3, first 2 shown]
	v_fma_f64 v[137:138], v[119:120], s[16:17], v[95:96]
	v_fma_f64 v[95:96], v[119:120], s[16:17], -v[95:96]
	v_add_f64_e32 v[68:69], v[24:25], v[68:69]
	v_add_f64_e32 v[111:112], v[131:132], v[111:112]
	;; [unrolled: 1-line block ×22, first 2 shown]
	v_add_nc_u32_e32 v97, 0x2228, v94
	v_add_nc_u32_e32 v98, 0x2238, v94
	;; [unrolled: 1-line block ×4, first 2 shown]
	v_add_f64_e32 v[68:69], v[0:1], v[68:69]
	s_delay_alu instid0(VALU_DEP_1)
	v_add_f64_e32 v[68:69], v[4:5], v[68:69]
	ds_store_2addr_b64 v91, v[113:114], v[111:112] offset1:1
	ds_store_2addr_b64 v97, v[103:104], v[101:102] offset1:1
	;; [unrolled: 1-line block ×5, first 2 shown]
	ds_store_b64 v94, v[12:13] offset:8792
.LBB0_17:
	s_wait_alu 0xfffe
	s_or_b32 exec_lo, exec_lo, s1
	v_add_f64_e32 v[12:13], v[86:87], v[70:71]
	v_add_f64_e64 v[44:45], v[84:85], -v[44:45]
	v_add_f64_e64 v[48:49], v[80:81], -v[48:49]
	v_add_f64_e32 v[68:69], v[46:47], v[86:87]
	v_add_f64_e64 v[52:53], v[76:77], -v[52:53]
	v_add_f64_e32 v[76:77], v[50:51], v[82:83]
	v_add_f64_e64 v[64:65], v[72:73], -v[64:65]
	v_add_f64_e64 v[56:57], v[56:57], -v[60:61]
	global_wb scope:SCOPE_SE
	s_wait_dscnt 0x0
	s_wait_kmcnt 0x0
	s_barrier_signal -1
	s_barrier_wait -1
	global_inv scope:SCOPE_SE
	v_add_f64_e32 v[12:13], v[82:83], v[12:13]
	v_mul_f64_e32 v[80:81], s[28:29], v[44:45]
	v_mul_f64_e32 v[84:85], s[36:37], v[44:45]
	;; [unrolled: 1-line block ×15, first 2 shown]
	v_add_f64_e32 v[12:13], v[78:79], v[12:13]
	v_fma_f64 v[103:104], v[68:69], s[12:13], v[80:81]
	v_fma_f64 v[105:106], v[68:69], s[4:5], v[84:85]
	v_fma_f64 v[84:85], v[68:69], s[4:5], -v[84:85]
	v_fma_f64 v[107:108], v[68:69], s[14:15], v[86:87]
	v_fma_f64 v[86:87], v[68:69], s[14:15], -v[86:87]
	;; [unrolled: 2-line block ×4, first 2 shown]
	v_fma_f64 v[68:69], v[68:69], s[12:13], -v[80:81]
	v_add_f64_e32 v[78:79], v[54:55], v[78:79]
	v_mul_f64_e32 v[80:81], s[34:35], v[52:53]
	v_mul_f64_e32 v[52:53], s[22:23], v[52:53]
	v_fma_f64 v[117:118], v[76:77], s[4:5], v[82:83]
	v_fma_f64 v[82:83], v[76:77], s[4:5], -v[82:83]
	v_fma_f64 v[119:120], v[76:77], s[14:15], v[97:98]
	v_fma_f64 v[97:98], v[76:77], s[14:15], -v[97:98]
	;; [unrolled: 2-line block ×5, first 2 shown]
	v_add_f64_e32 v[12:13], v[74:75], v[12:13]
	v_add_f64_e32 v[76:77], v[70:71], v[103:104]
	;; [unrolled: 1-line block ×12, first 2 shown]
	v_mul_f64_e32 v[74:75], s[30:31], v[64:65]
	v_mul_f64_e32 v[111:112], s[28:29], v[64:65]
	;; [unrolled: 1-line block ×3, first 2 shown]
	v_fma_f64 v[129:130], v[78:79], s[10:11], v[72:73]
	v_fma_f64 v[72:73], v[78:79], s[10:11], -v[72:73]
	v_fma_f64 v[131:132], v[78:79], s[16:17], v[80:81]
	v_fma_f64 v[80:81], v[78:79], s[16:17], -v[80:81]
	v_fma_f64 v[133:134], v[78:79], s[4:5], v[113:114]
	v_fma_f64 v[113:114], v[78:79], s[4:5], -v[113:114]
	v_fma_f64 v[135:136], v[78:79], s[12:13], v[115:116]
	v_fma_f64 v[115:116], v[78:79], s[12:13], -v[115:116]
	v_fma_f64 v[137:138], v[78:79], s[14:15], v[52:53]
	v_fma_f64 v[52:53], v[78:79], s[14:15], -v[52:53]
	v_add_f64_e32 v[12:13], v[58:59], v[12:13]
	v_add_f64_e32 v[76:77], v[117:118], v[76:77]
	;; [unrolled: 1-line block ×11, first 2 shown]
	v_mul_f64_e32 v[82:83], s[24:25], v[56:57]
	v_mul_f64_e32 v[95:96], s[22:23], v[56:57]
	;; [unrolled: 1-line block ×3, first 2 shown]
	v_fma_f64 v[103:104], v[70:71], s[14:15], v[60:61]
	v_fma_f64 v[60:61], v[70:71], s[14:15], -v[60:61]
	v_fma_f64 v[105:106], v[70:71], s[10:11], v[74:75]
	v_fma_f64 v[74:75], v[70:71], s[10:11], -v[74:75]
	;; [unrolled: 2-line block ×4, first 2 shown]
	v_add_f64_e32 v[12:13], v[62:63], v[12:13]
	v_mul_f64_e32 v[62:63], s[26:27], v[56:57]
	v_mul_f64_e32 v[56:57], s[18:19], v[56:57]
	v_add_f64_e32 v[48:49], v[52:53], v[48:49]
	v_add_f64_e32 v[44:45], v[113:114], v[44:45]
	;; [unrolled: 1-line block ×4, first 2 shown]
	v_fma_f64 v[109:110], v[70:71], s[12:13], -v[111:112]
	v_fma_f64 v[111:112], v[70:71], s[16:17], v[127:128]
	v_add_f64_e32 v[70:71], v[129:130], v[76:77]
	v_add_f64_e32 v[76:77], v[131:132], v[78:79]
	;; [unrolled: 1-line block ×6, first 2 shown]
	v_fma_f64 v[97:98], v[58:59], s[4:5], v[99:100]
	v_fma_f64 v[99:100], v[58:59], s[4:5], -v[99:100]
	v_fma_f64 v[101:102], v[58:59], s[10:11], v[56:57]
	v_fma_f64 v[56:57], v[58:59], s[10:11], -v[56:57]
	v_add_f64_e32 v[48:49], v[64:65], v[48:49]
	v_add_f64_e32 v[12:13], v[54:55], v[12:13]
	;; [unrolled: 1-line block ×4, first 2 shown]
	v_fma_f64 v[66:67], v[58:59], s[16:17], v[62:63]
	v_fma_f64 v[62:63], v[58:59], s[16:17], -v[62:63]
	v_fma_f64 v[68:69], v[58:59], s[12:13], v[82:83]
	v_fma_f64 v[72:73], v[58:59], s[12:13], -v[82:83]
	;; [unrolled: 2-line block ×3, first 2 shown]
	v_add_f64_e32 v[58:59], v[103:104], v[70:71]
	v_add_f64_e32 v[70:71], v[105:106], v[76:77]
	;; [unrolled: 1-line block ×8, first 2 shown]
	v_mad_i32_i24 v80, 0xffffffb0, v90, v94
	s_delay_alu instid0(VALU_DEP_1)
	v_add_nc_u32_e32 v81, 0x2400, v80
	v_add_nc_u32_e32 v91, 0x800, v80
	;; [unrolled: 1-line block ×4, first 2 shown]
	v_add_f64_e32 v[12:13], v[50:51], v[12:13]
	v_add_f64_e32 v[50:51], v[107:108], v[52:53]
	;; [unrolled: 1-line block ×10, first 2 shown]
	v_add_nc_u32_e32 v84, 0x400, v80
	v_add_nc_u32_e32 v85, 0x1800, v80
	v_add_f64_e32 v[111:112], v[46:47], v[12:13]
	v_add_f64_e32 v[113:114], v[82:83], v[50:51]
	;; [unrolled: 1-line block ×3, first 2 shown]
	v_add_nc_u32_e32 v82, 0x1000, v80
	v_add_nc_u32_e32 v83, 0x2800, v80
	ds_load_2addr_b64 v[44:47], v80 offset1:99
	ds_load_2addr_b64 v[68:71], v82 offset0:82 offset1:181
	ds_load_2addr_b64 v[64:67], v81 offset0:36 offset1:135
	;; [unrolled: 1-line block ×8, first 2 shown]
	v_add_nc_u32_e32 v12, 0x63, v90
	global_wb scope:SCOPE_SE
	s_wait_dscnt 0x0
	s_barrier_signal -1
	s_barrier_wait -1
	global_inv scope:SCOPE_SE
	ds_store_2addr_b64 v94, v[97:98], v[101:102] offset0:4 offset1:5
	ds_store_2addr_b64 v94, v[109:110], v[99:100] offset0:6 offset1:7
	ds_store_2addr_b64 v94, v[111:112], v[103:104] offset1:1
	ds_store_2addr_b64 v94, v[105:106], v[113:114] offset0:2 offset1:3
	ds_store_2addr_b64 v94, v[95:96], v[107:108] offset0:8 offset1:9
	ds_store_b64 v94, v[115:116] offset:80
	s_and_saveexec_b32 s30, s0
	s_cbranch_execz .LBB0_19
; %bb.18:
	v_add_f64_e32 v[94:95], v[42:43], v[14:15]
	v_add_f64_e64 v[4:5], v[40:41], -v[4:5]
	s_mov_b32 s24, 0xf8bb580b
	s_mov_b32 s16, 0xbb3a28a1
	;; [unrolled: 1-line block ×8, first 2 shown]
	v_add_f64_e64 v[0:1], v[36:37], -v[0:1]
	v_add_f64_e32 v[36:37], v[6:7], v[42:43]
	s_mov_b32 s14, 0x43842ef
	s_mov_b32 s15, 0xbfefac9e
	s_mov_b32 s10, 0x8764f0ba
	s_mov_b32 s0, 0xd9c712b6
	s_mov_b32 s18, 0x7f775887
	s_mov_b32 s22, 0x9bcd5057
	s_mov_b32 s11, 0x3feaeb8c
	s_mov_b32 s1, 0x3fda9628
	s_mov_b32 s19, 0xbfe4f49e
	s_mov_b32 s35, 0x3fd207e7
	s_mov_b32 s29, 0x3fefac9e
	s_mov_b32 s27, 0x3fe14ced
	s_wait_alu 0xfffe
	s_mov_b32 s34, s20
	s_mov_b32 s28, s14
	;; [unrolled: 1-line block ×5, first 2 shown]
	v_add_f64_e64 v[8:9], v[32:33], -v[8:9]
	v_add_f64_e32 v[32:33], v[2:3], v[38:39]
	s_mov_b32 s5, 0xbfc2375f
	v_add_f64_e64 v[24:25], v[28:29], -v[24:25]
	v_add_f64_e32 v[94:95], v[38:39], v[94:95]
	v_mul_f64_e32 v[42:43], s[24:25], v[4:5]
	v_mul_f64_e32 v[96:97], s[16:17], v[4:5]
	;; [unrolled: 1-line block ×5, first 2 shown]
	s_wait_alu 0xfffe
	v_mul_f64_e32 v[102:103], s[34:35], v[0:1]
	v_mul_f64_e32 v[104:105], s[28:29], v[0:1]
	;; [unrolled: 1-line block ×7, first 2 shown]
	v_add_f64_e32 v[40:41], v[34:35], v[94:95]
	v_mul_f64_e32 v[94:95], s[12:13], v[4:5]
	v_mul_f64_e32 v[4:5], s[14:15], v[4:5]
	v_fma_f64 v[106:107], v[36:37], s[10:11], v[42:43]
	v_fma_f64 v[110:111], v[36:37], s[18:19], v[96:97]
	v_fma_f64 v[96:97], v[36:37], s[18:19], -v[96:97]
	v_fma_f64 v[112:113], v[36:37], s[22:23], v[98:99]
	v_fma_f64 v[98:99], v[36:37], s[22:23], -v[98:99]
	s_mov_b32 s13, 0x3fed1bb4
	v_add_f64_e32 v[34:35], v[10:11], v[34:35]
	v_fma_f64 v[120:121], v[32:33], s[0:1], v[38:39]
	v_fma_f64 v[38:39], v[32:33], s[0:1], -v[38:39]
	v_fma_f64 v[122:123], v[32:33], s[18:19], v[100:101]
	v_fma_f64 v[100:101], v[32:33], s[18:19], -v[100:101]
	;; [unrolled: 2-line block ×5, first 2 shown]
	v_add_f64_e32 v[40:41], v[30:31], v[40:41]
	v_fma_f64 v[108:109], v[36:37], s[0:1], v[94:95]
	v_fma_f64 v[94:95], v[36:37], s[0:1], -v[94:95]
	v_fma_f64 v[114:115], v[36:37], s[4:5], v[4:5]
	v_fma_f64 v[4:5], v[36:37], s[4:5], -v[4:5]
	v_fma_f64 v[36:37], v[36:37], s[10:11], -v[42:43]
	v_mul_f64_e32 v[42:43], s[34:35], v[8:9]
	s_wait_alu 0xfffe
	v_mul_f64_e32 v[8:9], s[12:13], v[8:9]
	v_add_f64_e32 v[32:33], v[14:15], v[106:107]
	v_add_f64_e32 v[96:97], v[14:15], v[96:97]
	;; [unrolled: 1-line block ×4, first 2 shown]
	v_fma_f64 v[132:133], v[34:35], s[4:5], v[28:29]
	v_fma_f64 v[28:29], v[34:35], s[4:5], -v[28:29]
	v_fma_f64 v[136:137], v[34:35], s[10:11], v[116:117]
	v_fma_f64 v[116:117], v[34:35], s[10:11], -v[116:117]
	;; [unrolled: 2-line block ×3, first 2 shown]
	v_add_f64_e32 v[40:41], v[18:19], v[40:41]
	v_add_f64_e32 v[106:107], v[14:15], v[108:109]
	;; [unrolled: 1-line block ×8, first 2 shown]
	v_add_f64_e64 v[15:16], v[16:17], -v[20:21]
	v_mul_f64_e32 v[20:21], s[16:17], v[24:25]
	v_mul_f64_e32 v[36:37], s[28:29], v[24:25]
	;; [unrolled: 1-line block ×4, first 2 shown]
	v_fma_f64 v[134:135], v[34:35], s[22:23], v[42:43]
	v_fma_f64 v[42:43], v[34:35], s[22:23], -v[42:43]
	v_fma_f64 v[140:141], v[34:35], s[0:1], v[8:9]
	v_fma_f64 v[8:9], v[34:35], s[0:1], -v[8:9]
	v_add_f64_e32 v[32:33], v[120:121], v[32:33]
	v_add_f64_e32 v[96:97], v[104:105], v[96:97]
	;; [unrolled: 1-line block ×4, first 2 shown]
	v_fma_f64 v[120:121], v[30:31], s[22:23], -v[130:131]
	v_add_f64_e32 v[40:41], v[22:23], v[40:41]
	v_add_f64_e32 v[34:35], v[122:123], v[106:107]
	;; [unrolled: 1-line block ×7, first 2 shown]
	v_mul_f64_e32 v[22:23], s[20:21], v[15:16]
	v_mul_f64_e32 v[38:39], s[26:27], v[15:16]
	;; [unrolled: 1-line block ×5, first 2 shown]
	v_fma_f64 v[106:107], v[30:31], s[18:19], v[20:21]
	v_fma_f64 v[19:20], v[30:31], s[18:19], -v[20:21]
	v_fma_f64 v[108:109], v[30:31], s[4:5], v[36:37]
	v_fma_f64 v[36:37], v[30:31], s[4:5], -v[36:37]
	v_fma_f64 v[110:111], v[30:31], s[10:11], v[114:115]
	v_fma_f64 v[122:123], v[30:31], s[0:1], v[24:25]
	v_fma_f64 v[24:25], v[30:31], s[0:1], -v[24:25]
	v_add_f64_e32 v[0:1], v[118:119], v[0:1]
	v_add_f64_e32 v[26:27], v[26:27], v[40:41]
	;; [unrolled: 1-line block ×3, first 2 shown]
	v_fma_f64 v[112:113], v[30:31], s[10:11], -v[114:115]
	v_fma_f64 v[114:115], v[30:31], s[22:23], v[130:131]
	v_add_f64_e32 v[30:31], v[132:133], v[32:33]
	v_add_f64_e32 v[32:33], v[134:135], v[34:35]
	;; [unrolled: 1-line block ×8, first 2 shown]
	v_fma_f64 v[13:14], v[17:18], s[22:23], v[22:23]
	v_fma_f64 v[21:22], v[17:18], s[22:23], -v[22:23]
	v_fma_f64 v[28:29], v[17:18], s[10:11], v[38:39]
	v_fma_f64 v[38:39], v[17:18], s[10:11], -v[38:39]
	;; [unrolled: 2-line block ×4, first 2 shown]
	v_add_f64_e32 v[0:1], v[24:25], v[0:1]
	v_add_f64_e32 v[10:11], v[10:11], v[26:27]
	;; [unrolled: 1-line block ×3, first 2 shown]
	v_fma_f64 v[40:41], v[17:18], s[18:19], v[98:99]
	v_fma_f64 v[98:99], v[17:18], s[18:19], -v[98:99]
	v_add_f64_e32 v[17:18], v[106:107], v[30:31]
	v_add_f64_e32 v[30:31], v[108:109], v[32:33]
	;; [unrolled: 1-line block ×21, first 2 shown]
	v_mad_u32_u24 v10, 0x58, v12, 0
	ds_store_2addr_b64 v10, v[23:24], v[25:26] offset0:4 offset1:5
	ds_store_2addr_b64 v10, v[0:1], v[15:16] offset0:6 offset1:7
	ds_store_2addr_b64 v10, v[2:3], v[13:14] offset1:1
	ds_store_2addr_b64 v10, v[17:18], v[6:7] offset0:2 offset1:3
	ds_store_2addr_b64 v10, v[4:5], v[19:20] offset0:8 offset1:9
	ds_store_b64 v10, v[8:9] offset:80
.LBB0_19:
	s_wait_alu 0xfffe
	s_or_b32 exec_lo, exec_lo, s30
	v_and_b32_e32 v19, 0xff, v90
	v_and_b32_e32 v170, 0xff, v12
	v_add_nc_u32_e32 v2, 0xc6, v90
	v_add_nc_u32_e32 v5, 0x129, v90
	;; [unrolled: 1-line block ×3, first 2 shown]
	v_mul_lo_u16 v0, 0x75, v19
	v_mul_lo_u16 v1, 0x75, v170
	v_add_nc_u32_e32 v3, 0x1ef, v90
	global_wb scope:SCOPE_SE
	s_wait_dscnt 0x0
	s_barrier_signal -1
	v_lshrrev_b16 v8, 8, v0
	v_lshrrev_b16 v9, 8, v1
	v_and_b32_e32 v0, 0xffff, v2
	v_and_b32_e32 v1, 0xffff, v5
	s_barrier_wait -1
	v_sub_nc_u16 v6, v90, v8
	v_sub_nc_u16 v7, v12, v9
	v_mul_u32_u24_e32 v11, 0xba2f, v0
	v_mul_u32_u24_e32 v13, 0xba2f, v1
	global_inv scope:SCOPE_SE
	v_lshrrev_b16 v10, 1, v6
	v_lshrrev_b16 v7, 1, v7
	v_lshrrev_b32_e32 v171, 19, v11
	v_lshrrev_b32_e32 v172, 19, v13
	v_and_b32_e32 v6, 0xffff, v4
	v_and_b32_e32 v10, 0x7f, v10
	;; [unrolled: 1-line block ×4, first 2 shown]
	v_mul_lo_u16 v13, v172, 11
	v_mul_u32_u24_e32 v11, 0xba2f, v6
	v_add_nc_u16 v8, v10, v8
	v_add_nc_u16 v9, v14, v9
	v_mul_lo_u16 v10, v171, 11
	v_mul_lo_u16 v181, 0xf9, v19
	v_lshrrev_b32_e32 v176, 19, v11
	v_lshrrev_b16 v173, 3, v8
	v_lshrrev_b16 v174, 3, v9
	v_sub_nc_u16 v8, v2, v10
	v_sub_nc_u16 v10, v5, v13
	v_mul_u32_u24_e32 v9, 0xba2f, v7
	v_mul_lo_u16 v13, v173, 11
	v_mul_lo_u16 v14, v174, 11
	v_and_b32_e32 v175, 0xffff, v8
	v_and_b32_e32 v177, 0xffff, v10
	v_lshrrev_b32_e32 v178, 19, v9
	v_sub_nc_u16 v8, v90, v13
	v_sub_nc_u16 v10, v12, v14
	v_lshlrev_b32_e32 v11, 5, v175
	v_lshlrev_b32_e32 v9, 5, v177
	v_mul_lo_u16 v170, 0xf9, v170
	v_and_b32_e32 v20, 0xff, v8
	v_and_b32_e32 v21, 0xff, v10
	s_clause 0x3
	global_load_b128 v[22:25], v11, s[8:9] offset:16
	global_load_b128 v[26:29], v11, s[8:9]
	global_load_b128 v[30:33], v9, s[8:9]
	global_load_b128 v[34:37], v9, s[8:9] offset:16
	v_mul_lo_u16 v8, v176, 11
	v_lshlrev_b32_e32 v9, 5, v20
	v_lshlrev_b32_e32 v11, 5, v21
	v_mul_lo_u16 v10, v178, 11
	s_mov_b32 s4, 0xe8584caa
	v_sub_nc_u16 v8, v4, v8
	s_clause 0x3
	global_load_b128 v[38:41], v9, s[8:9]
	global_load_b128 v[94:97], v11, s[8:9]
	global_load_b128 v[98:101], v9, s[8:9] offset:16
	global_load_b128 v[102:105], v11, s[8:9] offset:16
	v_sub_nc_u16 v10, v3, v10
	s_mov_b32 s5, 0x3febb67a
	v_and_b32_e32 v179, 0xffff, v8
	s_mov_b32 s11, 0xbfebb67a
	s_wait_alu 0xfffe
	s_mov_b32 s10, s4
	v_and_b32_e32 v180, 0xffff, v10
	v_lshlrev_b32_e32 v20, 3, v20
	v_lshlrev_b32_e32 v8, 5, v179
	;; [unrolled: 1-line block ×3, first 2 shown]
	s_delay_alu instid0(VALU_DEP_4)
	v_lshlrev_b32_e32 v9, 5, v180
	s_clause 0x3
	global_load_b128 v[106:109], v8, s[8:9]
	global_load_b128 v[110:113], v9, s[8:9]
	global_load_b128 v[114:117], v8, s[8:9] offset:16
	global_load_b128 v[118:121], v9, s[8:9] offset:16
	ds_load_2addr_b64 v[122:125], v85 offset0:24 offset1:123
	ds_load_2addr_b64 v[126:129], v83 offset0:106 offset1:205
	ds_load_2addr_b64 v[130:133], v82 offset0:82 offset1:181
	ds_load_2addr_b64 v[134:137], v81 offset0:36 offset1:135
	ds_load_2addr_b64 v[138:141], v86 offset0:94 offset1:193
	ds_load_2addr_b64 v[142:145], v87 offset0:48 offset1:147
	ds_load_2addr_b64 v[146:149], v80 offset1:99
	ds_load_2addr_b64 v[150:153], v84 offset0:70 offset1:169
	ds_load_2addr_b64 v[154:157], v91 offset0:140 offset1:239
	global_wb scope:SCOPE_SE
	s_wait_loadcnt_dscnt 0x0
	s_barrier_signal -1
	s_barrier_wait -1
	global_inv scope:SCOPE_SE
	v_mul_f64_e32 v[13:14], v[126:127], v[24:25]
	v_mul_f64_e32 v[10:11], v[124:125], v[32:33]
	;; [unrolled: 1-line block ×20, first 2 shown]
	v_fma_f64 v[72:73], v[72:73], v[22:23], -v[13:14]
	v_fma_f64 v[78:79], v[78:79], v[30:31], -v[10:11]
	v_mul_f64_e32 v[10:11], v[56:57], v[116:117]
	v_fma_f64 v[76:77], v[76:77], v[26:27], -v[8:9]
	v_fma_f64 v[74:75], v[74:75], v[34:35], -v[15:16]
	v_fma_f64 v[26:27], v[122:123], v[26:27], v[28:29]
	v_fma_f64 v[22:23], v[126:127], v[22:23], v[24:25]
	;; [unrolled: 1-line block ×3, first 2 shown]
	v_fma_f64 v[68:69], v[68:69], v[38:39], -v[17:18]
	v_fma_f64 v[42:43], v[70:71], v[94:95], -v[42:43]
	v_mul_f64_e32 v[18:19], v[70:71], v[96:97]
	v_mul_f64_e32 v[70:71], v[66:67], v[104:105]
	;; [unrolled: 1-line block ×3, first 2 shown]
	v_fma_f64 v[64:65], v[64:65], v[98:99], -v[158:159]
	v_fma_f64 v[28:29], v[128:129], v[34:35], v[36:37]
	v_fma_f64 v[32:33], v[130:131], v[38:39], v[40:41]
	;; [unrolled: 1-line block ×3, first 2 shown]
	v_fma_f64 v[66:67], v[66:67], v[102:103], -v[160:161]
	v_mul_u32_u24_e32 v16, 0xf83f, v6
	v_mul_u32_u24_e32 v17, 0xf83f, v7
	v_lshrrev_b16 v8, 13, v181
	v_lshrrev_b16 v9, 13, v170
	v_fma_f64 v[60:61], v[60:61], v[106:107], -v[162:163]
	v_fma_f64 v[62:63], v[62:63], v[110:111], -v[164:165]
	;; [unrolled: 1-line block ×4, first 2 shown]
	v_fma_f64 v[30:31], v[138:139], v[106:107], v[108:109]
	v_lshrrev_b32_e32 v16, 21, v16
	v_mul_u32_u24_e32 v13, 0xf83f, v0
	v_lshrrev_b32_e32 v17, 21, v17
	v_mul_u32_u24_e32 v15, 0xf83f, v1
	v_mul_lo_u16 v104, v8, 33
	v_mul_lo_u16 v159, v16, 33
	;; [unrolled: 1-line block ×3, first 2 shown]
	v_lshrrev_b32_e32 v14, 21, v13
	v_lshrrev_b32_e32 v15, 21, v15
	v_mul_u32_u24_e32 v116, 0x108, v171
	v_sub_nc_u16 v108, v4, v159
	v_mul_u32_u24_e32 v117, 0x108, v172
	v_mul_u32_u24_e32 v120, 0x108, v176
	v_fma_f64 v[40:41], v[142:143], v[114:115], v[10:11]
	v_mul_lo_u16 v10, v17, 33
	v_sub_nc_u16 v13, v90, v104
	v_sub_nc_u16 v104, v12, v105
	v_mul_lo_u16 v105, v14, 33
	v_lshlrev_b32_e32 v109, 3, v177
	v_sub_nc_u16 v134, v3, v10
	v_and_b32_e32 v10, 0xffff, v108
	v_fma_f64 v[36:37], v[132:133], v[94:95], v[18:19]
	v_fma_f64 v[38:39], v[136:137], v[102:103], v[70:71]
	v_fma_f64 v[70:71], v[140:141], v[110:111], v[112:113]
	v_fma_f64 v[94:95], v[144:145], v[118:119], v[96:97]
	v_lshlrev_b32_e32 v108, 3, v175
	v_lshlrev_b32_e32 v110, 3, v179
	v_mul_lo_u16 v121, v15, 33
	v_and_b32_e32 v11, 0xff, v13
	v_and_b32_e32 v13, 0xff, v104
	v_add_f64_e32 v[96:97], v[68:69], v[64:65]
	v_sub_nc_u16 v18, v2, v105
	v_add3_u32 v141, 0, v116, v108
	v_add3_u32 v142, 0, v117, v109
	;; [unrolled: 1-line block ×3, first 2 shown]
	v_add_f64_e32 v[104:105], v[60:61], v[56:57]
	v_add_f64_e32 v[106:107], v[62:63], v[58:59]
	;; [unrolled: 1-line block ×5, first 2 shown]
	v_sub_nc_u16 v19, v5, v121
	v_add_f64_e32 v[112:113], v[54:55], v[78:79]
	v_add_f64_e32 v[100:101], v[76:77], v[72:73]
	;; [unrolled: 1-line block ×8, first 2 shown]
	v_add_f64_e64 v[130:131], v[32:33], -v[34:35]
	v_add_f64_e32 v[32:33], v[146:147], v[32:33]
	v_add_f64_e32 v[122:123], v[30:31], v[40:41]
	v_add_f64_e64 v[68:69], v[68:69], -v[64:65]
	v_add_f64_e32 v[132:133], v[46:47], v[42:43]
	v_add_f64_e64 v[78:79], v[78:79], -v[74:75]
	v_add_f64_e64 v[42:43], v[42:43], -v[66:67]
	;; [unrolled: 1-line block ×5, first 2 shown]
	v_and_b32_e32 v139, 0xffff, v173
	v_add_f64_e32 v[120:121], v[36:37], v[38:39]
	v_and_b32_e32 v140, 0xffff, v174
	v_add_f64_e32 v[126:127], v[70:71], v[94:95]
	v_mul_u32_u24_e32 v158, 0x108, v178
	v_mul_u32_u24_e32 v139, 0x108, v139
	v_lshlrev_b32_e32 v135, 5, v11
	v_mul_u32_u24_e32 v140, 0x108, v140
	v_lshlrev_b32_e32 v137, 3, v180
	v_fma_f64 v[44:45], v[96:97], -0.5, v[44:45]
	v_add_f64_e64 v[96:97], v[36:37], -v[38:39]
	v_add_f64_e32 v[36:37], v[148:149], v[36:37]
	v_lshlrev_b32_e32 v136, 5, v13
	v_add3_u32 v137, 0, v158, v137
	v_fma_f64 v[48:49], v[104:105], -0.5, v[48:49]
	v_add_f64_e64 v[104:105], v[70:71], -v[94:95]
	v_fma_f64 v[50:51], v[106:107], -0.5, v[50:51]
	v_add_f64_e32 v[70:71], v[156:157], v[70:71]
	v_fma_f64 v[106:107], v[110:111], -0.5, v[150:151]
	v_fma_f64 v[110:111], v[116:117], -0.5, v[146:147]
	;; [unrolled: 1-line block ×3, first 2 shown]
	v_add_f64_e32 v[74:75], v[112:113], v[74:75]
	v_add_f64_e64 v[98:99], v[26:27], -v[22:23]
	v_fma_f64 v[52:53], v[100:101], -0.5, v[52:53]
	v_add_f64_e64 v[100:101], v[24:25], -v[28:29]
	v_fma_f64 v[54:55], v[102:103], -0.5, v[54:55]
	v_add_f64_e64 v[102:103], v[30:31], -v[40:41]
	v_add_f64_e32 v[26:27], v[150:151], v[26:27]
	v_add_f64_e32 v[24:25], v[152:153], v[24:25]
	;; [unrolled: 1-line block ×3, first 2 shown]
	v_fma_f64 v[108:109], v[114:115], -0.5, v[152:153]
	v_add_f64_e32 v[30:31], v[154:155], v[30:31]
	v_fma_f64 v[114:115], v[122:123], -0.5, v[154:155]
	v_add_f64_e32 v[56:57], v[118:119], v[56:57]
	v_add_f64_e32 v[64:65], v[128:129], v[64:65]
	v_add_f64_e32 v[58:59], v[124:125], v[58:59]
	v_add_f64_e32 v[66:67], v[132:133], v[66:67]
	v_and_b32_e32 v18, 0xffff, v18
	v_and_b32_e32 v19, 0xffff, v19
	v_fma_f64 v[112:113], v[120:121], -0.5, v[148:149]
	v_and_b32_e32 v170, 0xffff, v134
	v_fma_f64 v[116:117], v[126:127], -0.5, v[156:157]
	v_lshlrev_b32_e32 v138, 5, v18
	v_mul_u32_u24_e32 v172, 0xa57f, v6
	v_mul_u32_u24_e32 v173, 0xa57f, v7
	v_and_b32_e32 v8, 0xffff, v8
	v_mul_u32_u24_e32 v171, 0xa57f, v1
	v_fma_f64 v[118:119], v[130:131], s[4:5], v[44:45]
	s_wait_alu 0xfffe
	v_fma_f64 v[44:45], v[130:131], s[10:11], v[44:45]
	v_add_f64_e32 v[124:125], v[36:37], v[38:39]
	v_add3_u32 v130, 0, v139, v20
	v_add3_u32 v131, 0, v140, v21
	v_and_b32_e32 v9, 0xffff, v9
	v_add_f64_e32 v[70:71], v[70:71], v[94:95]
	v_add_f64_e32 v[94:95], v[32:33], v[34:35]
	v_fma_f64 v[128:129], v[68:69], s[10:11], v[110:111]
	v_fma_f64 v[68:69], v[68:69], s[4:5], v[110:111]
	;; [unrolled: 1-line block ×12, first 2 shown]
	v_add_f64_e32 v[104:105], v[26:27], v[22:23]
	v_fma_f64 v[126:127], v[76:77], s[10:11], v[106:107]
	v_fma_f64 v[76:77], v[76:77], s[4:5], v[106:107]
	v_add_f64_e32 v[122:123], v[24:25], v[28:29]
	v_fma_f64 v[106:107], v[78:79], s[10:11], v[108:109]
	v_fma_f64 v[78:79], v[78:79], s[4:5], v[108:109]
	;; [unrolled: 3-line block ×3, first 2 shown]
	v_fma_f64 v[112:113], v[42:43], s[4:5], v[112:113]
	v_fma_f64 v[60:61], v[60:61], s[4:5], v[114:115]
	;; [unrolled: 1-line block ×4, first 2 shown]
	ds_store_2addr_b64 v130, v[64:65], v[118:119] offset1:11
	ds_store_b64 v130, v[44:45] offset:176
	ds_store_2addr_b64 v131, v[66:67], v[120:121] offset1:11
	ds_store_b64 v131, v[46:47] offset:176
	;; [unrolled: 2-line block ×6, first 2 shown]
	global_wb scope:SCOPE_SE
	s_wait_dscnt 0x0
	s_barrier_signal -1
	s_barrier_wait -1
	global_inv scope:SCOPE_SE
	ds_load_2addr_b64 v[20:23], v80 offset1:99
	ds_load_2addr_b64 v[24:27], v82 offset0:82 offset1:181
	ds_load_2addr_b64 v[28:31], v81 offset0:36 offset1:135
	;; [unrolled: 1-line block ×8, first 2 shown]
	global_wb scope:SCOPE_SE
	s_wait_dscnt 0x0
	s_barrier_signal -1
	s_barrier_wait -1
	global_inv scope:SCOPE_SE
	v_mul_u32_u24_e32 v9, 0x318, v9
	ds_store_2addr_b64 v130, v[94:95], v[128:129] offset1:11
	ds_store_b64 v130, v[68:69] offset:176
	ds_store_2addr_b64 v131, v[124:125], v[110:111] offset1:11
	ds_store_b64 v131, v[112:113] offset:176
	;; [unrolled: 2-line block ×6, first 2 shown]
	global_wb scope:SCOPE_SE
	s_wait_dscnt 0x0
	s_barrier_signal -1
	s_barrier_wait -1
	global_inv scope:SCOPE_SE
	s_clause 0x3
	global_load_b128 v[58:61], v135, s[8:9] offset:368
	global_load_b128 v[62:65], v135, s[8:9] offset:352
	;; [unrolled: 1-line block ×4, first 2 shown]
	v_lshlrev_b32_e32 v40, 5, v19
	s_clause 0x1
	global_load_b128 v[74:77], v138, s[8:9] offset:368
	global_load_b128 v[94:97], v138, s[8:9] offset:352
	v_lshlrev_b32_e32 v41, 5, v10
	v_lshlrev_b32_e32 v78, 5, v170
	s_clause 0x5
	global_load_b128 v[98:101], v40, s[8:9] offset:352
	global_load_b128 v[102:105], v40, s[8:9] offset:368
	;; [unrolled: 1-line block ×6, first 2 shown]
	v_mov_b32_e32 v41, 0
	ds_load_2addr_b64 v[122:125], v82 offset0:82 offset1:181
	ds_load_2addr_b64 v[126:129], v81 offset0:36 offset1:135
	;; [unrolled: 1-line block ×6, first 2 shown]
	v_lshlrev_b32_e32 v40, 1, v90
	s_delay_alu instid0(VALU_DEP_1) | instskip(SKIP_1) | instid1(VALU_DEP_1)
	v_lshlrev_b64_e32 v[168:169], 4, v[40:41]
	v_mul_u32_u24_e32 v40, 0xa57f, v0
	v_lshrrev_b32_e32 v40, 22, v40
	s_delay_alu instid0(VALU_DEP_3) | instskip(SKIP_1) | instid1(VALU_DEP_4)
	v_add_co_u32 v0, s0, s8, v168
	s_wait_alu 0xf1ff
	v_add_co_ci_u32_e64 v1, s0, s9, v169, s0
	s_wait_loadcnt_dscnt 0xb04
	v_mul_f64_e32 v[148:149], v[126:127], v[60:61]
	s_wait_loadcnt 0xa
	v_mul_f64_e32 v[78:79], v[122:123], v[64:65]
	s_wait_loadcnt 0x9
	;; [unrolled: 2-line block ×3, first 2 shown]
	v_mul_f64_e32 v[146:147], v[124:125], v[72:73]
	s_wait_loadcnt_dscnt 0x702
	v_mul_f64_e32 v[154:155], v[134:135], v[76:77]
	s_wait_loadcnt 0x6
	v_mul_f64_e32 v[152:153], v[130:131], v[96:97]
	v_mul_f64_e32 v[6:7], v[24:25], v[64:65]
	v_mul_f64_e32 v[60:61], v[28:29], v[60:61]
	s_wait_loadcnt 0x5
	v_mul_f64_e32 v[156:157], v[132:133], v[100:101]
	s_wait_loadcnt 0x4
	v_mul_f64_e32 v[158:159], v[136:137], v[104:105]
	v_mul_f64_e32 v[64:65], v[26:27], v[72:73]
	;; [unrolled: 1-line block ×3, first 2 shown]
	s_wait_loadcnt_dscnt 0x301
	v_mul_f64_e32 v[160:161], v[138:139], v[108:109]
	s_wait_loadcnt_dscnt 0x200
	v_mul_f64_e32 v[162:163], v[142:143], v[112:113]
	v_mul_f64_e32 v[72:73], v[36:37], v[96:97]
	;; [unrolled: 1-line block ×3, first 2 shown]
	s_wait_loadcnt 0x1
	v_mul_f64_e32 v[164:165], v[140:141], v[116:117]
	s_wait_loadcnt 0x0
	v_mul_f64_e32 v[166:167], v[144:145], v[120:121]
	v_mul_f64_e32 v[96:97], v[38:39], v[100:101]
	;; [unrolled: 1-line block ×5, first 2 shown]
	v_fma_f64 v[28:29], v[28:29], v[58:59], -v[148:149]
	v_fma_f64 v[78:79], v[24:25], v[62:63], -v[78:79]
	v_mul_f64_e32 v[24:25], v[52:53], v[116:117]
	v_fma_f64 v[112:113], v[26:27], v[70:71], -v[146:147]
	v_mul_f64_e32 v[26:27], v[56:57], v[120:121]
	v_fma_f64 v[30:31], v[30:31], v[66:67], -v[150:151]
	v_fma_f64 v[36:37], v[36:37], v[94:95], -v[152:153]
	;; [unrolled: 1-line block ×3, first 2 shown]
	v_mul_u32_u24_e32 v121, 0x318, v8
	v_fma_f64 v[7:8], v[122:123], v[62:63], v[6:7]
	v_fma_f64 v[58:59], v[126:127], v[58:59], v[60:61]
	v_fma_f64 v[38:39], v[38:39], v[98:99], -v[156:157]
	v_fma_f64 v[44:45], v[44:45], v[102:103], -v[158:159]
	v_fma_f64 v[60:61], v[124:125], v[70:71], v[64:65]
	v_fma_f64 v[62:63], v[128:129], v[66:67], v[68:69]
	v_fma_f64 v[50:51], v[50:51], v[106:107], -v[160:161]
	v_fma_f64 v[54:55], v[54:55], v[110:111], -v[162:163]
	;; [unrolled: 4-line block ×3, first 2 shown]
	v_fma_f64 v[68:69], v[132:133], v[98:99], v[96:97]
	v_fma_f64 v[70:71], v[136:137], v[102:103], v[100:101]
	;; [unrolled: 1-line block ×4, first 2 shown]
	v_lshrrev_b32_e32 v116, 22, v171
	v_lshrrev_b32_e32 v117, 22, v172
	;; [unrolled: 1-line block ×3, first 2 shown]
	v_mul_u32_u24_e32 v146, 0x318, v14
	v_mul_u32_u24_e32 v147, 0x318, v15
	;; [unrolled: 1-line block ×3, first 2 shown]
	v_mul_lo_u16 v14, 0x63, v40
	v_mul_lo_u16 v6, 0x63, v116
	;; [unrolled: 1-line block ×4, first 2 shown]
	v_mul_u32_u24_e32 v149, 0x318, v17
	v_sub_nc_u16 v14, v2, v14
	v_sub_nc_u16 v5, v5, v6
	;; [unrolled: 1-line block ×3, first 2 shown]
	v_add_f64_e32 v[96:97], v[78:79], v[28:29]
	v_fma_f64 v[76:77], v[140:141], v[114:115], v[24:25]
	v_sub_nc_u16 v3, v3, v16
	v_fma_f64 v[94:95], v[144:145], v[118:119], v[26:27]
	v_add_f64_e32 v[98:99], v[112:113], v[30:31]
	v_lshlrev_b32_e32 v6, 3, v11
	v_add_f64_e32 v[100:101], v[36:37], v[42:43]
	v_lshlrev_b32_e32 v11, 3, v13
	v_and_b32_e32 v150, 0xffff, v14
	v_add_f64_e32 v[108:109], v[7:8], v[58:59]
	v_and_b32_e32 v151, 0xffff, v5
	v_add_f64_e32 v[102:103], v[38:39], v[44:45]
	;; [unrolled: 2-line block ×4, first 2 shown]
	v_add3_u32 v134, 0, v121, v6
	v_add_f64_e32 v[118:119], v[64:65], v[66:67]
	ds_load_2addr_b64 v[3:6], v80 offset1:99
	ds_load_2addr_b64 v[13:16], v84 offset0:70 offset1:169
	ds_load_2addr_b64 v[24:27], v91 offset0:140 offset1:239
	v_add_f64_e32 v[106:107], v[52:53], v[56:57]
	v_add3_u32 v11, 0, v9, v11
	v_add_f64_e32 v[122:123], v[68:69], v[70:71]
	v_lshlrev_b32_e32 v40, 3, v18
	v_add_f64_e32 v[126:127], v[72:73], v[74:75]
	v_lshlrev_b32_e32 v135, 3, v19
	v_add_f64_e32 v[17:18], v[20:21], v[78:79]
	v_add_f64_e64 v[110:111], v[7:8], -v[58:59]
	v_add_f64_e32 v[116:117], v[22:23], v[112:113]
	v_add_f64_e32 v[120:121], v[32:33], v[36:37]
	;; [unrolled: 1-line block ×5, first 2 shown]
	v_lshlrev_b32_e32 v136, 3, v10
	v_add_f64_e64 v[9:10], v[78:79], -v[28:29]
	v_add_f64_e64 v[78:79], v[112:113], -v[30:31]
	;; [unrolled: 1-line block ×3, first 2 shown]
	s_wait_dscnt 0x2
	v_add_f64_e32 v[7:8], v[3:4], v[7:8]
	v_add_f64_e64 v[38:39], v[38:39], -v[44:45]
	v_fma_f64 v[19:20], v[96:97], -0.5, v[20:21]
	v_add_f64_e64 v[96:97], v[60:61], -v[62:63]
	v_add_f64_e32 v[60:61], v[5:6], v[60:61]
	v_add_f64_e32 v[130:131], v[76:77], v[94:95]
	v_fma_f64 v[21:22], v[98:99], -0.5, v[22:23]
	v_add_f64_e64 v[98:99], v[64:65], -v[66:67]
	v_fma_f64 v[32:33], v[100:101], -0.5, v[32:33]
	v_add_f64_e64 v[100:101], v[68:69], -v[70:71]
	s_wait_dscnt 0x1
	v_add_f64_e32 v[64:65], v[13:14], v[64:65]
	v_add_f64_e32 v[68:69], v[15:16], v[68:69]
	v_fma_f64 v[3:4], v[108:109], -0.5, v[3:4]
	v_fma_f64 v[34:35], v[102:103], -0.5, v[34:35]
	v_add_f64_e64 v[102:103], v[72:73], -v[74:75]
	s_wait_dscnt 0x0
	v_add_f64_e32 v[72:73], v[24:25], v[72:73]
	v_fma_f64 v[5:6], v[114:115], -0.5, v[5:6]
	v_fma_f64 v[46:47], v[104:105], -0.5, v[46:47]
	v_add_f64_e64 v[104:105], v[76:77], -v[94:95]
	v_add_f64_e32 v[76:77], v[26:27], v[76:77]
	v_fma_f64 v[13:14], v[118:119], -0.5, v[13:14]
	v_fma_f64 v[48:49], v[106:107], -0.5, v[48:49]
	v_add_f64_e64 v[50:51], v[50:51], -v[54:55]
	v_fma_f64 v[15:16], v[122:123], -0.5, v[15:16]
	v_add_f64_e64 v[52:53], v[52:53], -v[56:57]
	v_fma_f64 v[23:24], v[126:127], -0.5, v[24:25]
	v_lshlrev_b32_e32 v137, 3, v170
	v_add_f64_e32 v[17:18], v[17:18], v[28:29]
	v_add3_u32 v114, 0, v146, v40
	v_add_f64_e32 v[28:29], v[116:117], v[30:31]
	v_add_f64_e32 v[30:31], v[120:121], v[42:43]
	v_add_f64_e32 v[42:43], v[124:125], v[44:45]
	v_add_f64_e32 v[44:45], v[128:129], v[54:55]
	v_add_f64_e32 v[54:55], v[132:133], v[56:57]
	v_lshlrev_b32_e32 v138, 5, v150
	v_add3_u32 v115, 0, v147, v135
	v_add3_u32 v116, 0, v148, v136
	;; [unrolled: 1-line block ×3, first 2 shown]
	v_add_f64_e32 v[58:59], v[7:8], v[58:59]
	global_wb scope:SCOPE_SE
	v_fma_f64 v[56:57], v[110:111], s[4:5], v[19:20]
	v_fma_f64 v[19:20], v[110:111], s[10:11], v[19:20]
	v_add_f64_e32 v[60:61], v[60:61], v[62:63]
	v_fma_f64 v[25:26], v[130:131], -0.5, v[26:27]
	v_fma_f64 v[106:107], v[96:97], s[4:5], v[21:22]
	v_fma_f64 v[21:22], v[96:97], s[10:11], v[21:22]
	v_fma_f64 v[96:97], v[98:99], s[4:5], v[32:33]
	v_fma_f64 v[32:33], v[98:99], s[10:11], v[32:33]
	v_add_f64_e32 v[62:63], v[64:65], v[66:67]
	v_add_f64_e32 v[64:65], v[68:69], v[70:71]
	v_fma_f64 v[70:71], v[9:10], s[10:11], v[3:4]
	v_fma_f64 v[98:99], v[100:101], s[4:5], v[34:35]
	v_fma_f64 v[34:35], v[100:101], s[10:11], v[34:35]
	v_add_f64_e32 v[66:67], v[72:73], v[74:75]
	v_fma_f64 v[72:73], v[9:10], s[4:5], v[3:4]
	v_fma_f64 v[74:75], v[78:79], s[10:11], v[5:6]
	v_fma_f64 v[100:101], v[102:103], s[4:5], v[46:47]
	;; [unrolled: 4-line block ×3, first 2 shown]
	v_fma_f64 v[46:47], v[102:103], s[10:11], v[46:47]
	v_fma_f64 v[102:103], v[104:105], s[4:5], v[48:49]
	;; [unrolled: 1-line block ×7, first 2 shown]
	s_barrier_signal -1
	s_barrier_wait -1
	global_inv scope:SCOPE_SE
	ds_store_2addr_b64 v134, v[17:18], v[56:57] offset1:33
	ds_store_b64 v134, v[19:20] offset:528
	ds_store_2addr_b64 v11, v[28:29], v[106:107] offset1:33
	ds_store_b64 v11, v[21:22] offset:528
	ds_store_2addr_b64 v114, v[30:31], v[96:97] offset1:33
	ds_store_b64 v114, v[32:33] offset:528
	ds_store_2addr_b64 v115, v[42:43], v[98:99] offset1:33
	ds_store_b64 v115, v[34:35] offset:528
	ds_store_2addr_b64 v116, v[44:45], v[100:101] offset1:33
	ds_store_b64 v116, v[46:47] offset:528
	ds_store_2addr_b64 v117, v[54:55], v[102:103] offset1:33
	ds_store_b64 v117, v[48:49] offset:528
	v_fma_f64 v[112:113], v[52:53], s[10:11], v[25:26]
	v_fma_f64 v[52:53], v[52:53], s[4:5], v[25:26]
	global_wb scope:SCOPE_SE
	s_wait_dscnt 0x0
	s_barrier_signal -1
	s_barrier_wait -1
	global_inv scope:SCOPE_SE
	ds_load_2addr_b64 v[3:6], v80 offset1:99
	ds_load_2addr_b64 v[7:10], v82 offset0:82 offset1:181
	ds_load_2addr_b64 v[13:16], v81 offset0:36 offset1:135
	;; [unrolled: 1-line block ×8, first 2 shown]
	global_wb scope:SCOPE_SE
	s_wait_dscnt 0x0
	s_barrier_signal -1
	s_barrier_wait -1
	global_inv scope:SCOPE_SE
	ds_store_2addr_b64 v134, v[58:59], v[70:71] offset1:33
	ds_store_b64 v134, v[72:73] offset:528
	ds_store_2addr_b64 v11, v[60:61], v[74:75] offset1:33
	ds_store_b64 v11, v[76:77] offset:528
	;; [unrolled: 2-line block ×6, first 2 shown]
	v_lshlrev_b32_e32 v11, 5, v151
	v_lshlrev_b32_e32 v70, 5, v152
	;; [unrolled: 1-line block ×3, first 2 shown]
	global_wb scope:SCOPE_SE
	s_wait_dscnt 0x0
	s_barrier_signal -1
	s_barrier_wait -1
	global_inv scope:SCOPE_SE
	s_clause 0x9
	global_load_b128 v[42:45], v[0:1], off offset:1424
	global_load_b128 v[46:49], v[0:1], off offset:1408
	global_load_b128 v[50:53], v138, s[8:9] offset:1424
	global_load_b128 v[54:57], v138, s[8:9] offset:1408
	global_load_b128 v[58:61], v11, s[8:9] offset:1408
	global_load_b128 v[62:65], v11, s[8:9] offset:1424
	global_load_b128 v[66:69], v70, s[8:9] offset:1408
	global_load_b128 v[70:73], v70, s[8:9] offset:1424
	global_load_b128 v[74:77], v78, s[8:9] offset:1408
	global_load_b128 v[94:97], v78, s[8:9] offset:1424
	ds_load_2addr_b64 v[98:101], v82 offset0:82 offset1:181
	ds_load_2addr_b64 v[102:105], v81 offset0:36 offset1:135
	;; [unrolled: 1-line block ×6, first 2 shown]
	s_wait_loadcnt_dscnt 0x503
	v_mul_f64_e32 v[132:133], v[108:109], v[60:61]
	s_wait_loadcnt_dscnt 0x402
	v_mul_f64_e32 v[134:135], v[112:113], v[64:65]
	v_mul_f64_e32 v[122:123], v[102:103], v[44:45]
	;; [unrolled: 1-line block ×7, first 2 shown]
	s_wait_loadcnt_dscnt 0x301
	v_mul_f64_e32 v[136:137], v[114:115], v[68:69]
	s_wait_loadcnt_dscnt 0x200
	v_mul_f64_e32 v[138:139], v[118:119], v[72:73]
	s_wait_loadcnt 0x1
	v_mul_f64_e32 v[140:141], v[116:117], v[76:77]
	s_wait_loadcnt 0x0
	v_mul_f64_e32 v[142:143], v[120:121], v[96:97]
	v_mul_f64_e32 v[144:145], v[7:8], v[48:49]
	v_mul_f64_e32 v[146:147], v[13:14], v[44:45]
	v_mul_f64_e32 v[48:49], v[9:10], v[48:49]
	v_mul_f64_e32 v[44:45], v[15:16], v[44:45]
	v_mul_f64_e32 v[56:57], v[21:22], v[56:57]
	v_mul_f64_e32 v[52:53], v[25:26], v[52:53]
	v_mul_f64_e32 v[60:61], v[23:24], v[60:61]
	v_mul_f64_e32 v[64:65], v[27:28], v[64:65]
	v_mul_f64_e32 v[68:69], v[33:34], v[68:69]
	v_mul_f64_e32 v[72:73], v[37:38], v[72:73]
	v_mul_f64_e32 v[76:77], v[35:36], v[76:77]
	v_mul_f64_e32 v[96:97], v[39:40], v[96:97]
	v_fma_f64 v[27:28], v[27:28], v[62:63], -v[134:135]
	v_fma_f64 v[122:123], v[13:14], v[42:43], -v[122:123]
	;; [unrolled: 1-line block ×12, first 2 shown]
	v_fma_f64 v[98:99], v[98:99], v[46:47], v[144:145]
	v_fma_f64 v[102:103], v[102:103], v[42:43], v[146:147]
	;; [unrolled: 1-line block ×12, first 2 shown]
	v_lshlrev_b32_e32 v40, 1, v12
	v_lshl_add_u32 v132, v150, 3, 0
	v_lshl_add_u32 v133, v151, 3, 0
	;; [unrolled: 1-line block ×4, first 2 shown]
	v_lshlrev_b64_e32 v[7:8], 4, v[40:41]
	v_lshlrev_b32_e32 v40, 1, v2
	s_delay_alu instid0(VALU_DEP_2) | instskip(SKIP_1) | instid1(VALU_DEP_3)
	v_add_co_u32 v74, s0, s8, v7
	s_wait_alu 0xf1ff
	v_add_co_ci_u32_e64 v75, s0, s9, v8, s0
	ds_load_2addr_b64 v[7:10], v80 offset1:99
	ds_load_2addr_b64 v[11:14], v84 offset0:70 offset1:169
	ds_load_2addr_b64 v[21:24], v91 offset0:140 offset1:239
	v_add_f64_e32 v[62:63], v[78:79], v[122:123]
	v_add_f64_e32 v[76:77], v[3:4], v[78:79]
	;; [unrolled: 1-line block ×12, first 2 shown]
	v_add_f64_e64 v[94:95], v[98:99], -v[102:103]
	v_add_f64_e32 v[104:105], v[46:47], v[42:43]
	v_add_f64_e32 v[118:119], v[31:32], v[35:36]
	v_add_f64_e32 v[108:109], v[44:45], v[48:49]
	v_add_f64_e64 v[78:79], v[78:79], -v[122:123]
	v_add_f64_e32 v[112:113], v[50:51], v[52:53]
	v_add_f64_e64 v[33:34], v[33:34], -v[37:38]
	v_add_f64_e32 v[116:117], v[54:55], v[56:57]
	;; [unrolled: 2-line block ×3, first 2 shown]
	v_lshlrev_b64_e32 v[39:40], 4, v[40:41]
	global_wb scope:SCOPE_SE
	s_wait_dscnt 0x0
	s_barrier_signal -1
	s_barrier_wait -1
	global_inv scope:SCOPE_SE
	v_add_co_u32 v39, s0, s8, v39
	s_wait_alu 0xf1ff
	v_add_co_ci_u32_e64 v40, s0, s9, v40, s0
	v_fma_f64 v[2:3], v[62:63], -0.5, v[3:4]
	v_add_f64_e64 v[62:63], v[46:47], -v[42:43]
	v_fma_f64 v[4:5], v[64:65], -0.5, v[5:6]
	v_add_f64_e64 v[64:65], v[44:45], -v[48:49]
	;; [unrolled: 2-line block ×5, first 2 shown]
	v_fma_f64 v[31:32], v[72:73], -0.5, v[31:32]
	v_add_f64_e32 v[72:73], v[7:8], v[98:99]
	v_add_f64_e32 v[46:47], v[9:10], v[46:47]
	v_add_f64_e32 v[50:51], v[13:14], v[50:51]
	v_fma_f64 v[6:7], v[96:97], -0.5, v[7:8]
	v_add_f64_e32 v[44:45], v[11:12], v[44:45]
	v_add_f64_e32 v[54:55], v[21:22], v[54:55]
	v_add_f64_e64 v[98:99], v[124:125], -v[15:16]
	v_add_f64_e32 v[58:59], v[23:24], v[58:59]
	v_fma_f64 v[8:9], v[104:105], -0.5, v[9:10]
	v_add_f64_e64 v[124:125], v[126:127], -v[25:26]
	v_fma_f64 v[10:11], v[108:109], -0.5, v[11:12]
	v_add_f64_e64 v[126:127], v[128:129], -v[27:28]
	v_fma_f64 v[12:13], v[112:113], -0.5, v[13:14]
	v_fma_f64 v[21:22], v[116:117], -0.5, v[21:22]
	;; [unrolled: 1-line block ×3, first 2 shown]
	v_add_f64_e32 v[76:77], v[76:77], v[122:123]
	v_add_f64_e32 v[15:16], v[100:101], v[15:16]
	;; [unrolled: 1-line block ×6, first 2 shown]
	v_add_nc_u32_e32 v110, 0x1000, v132
	v_add_nc_u32_e32 v111, 0x1800, v133
	;; [unrolled: 1-line block ×4, first 2 shown]
	v_fma_f64 v[100:101], v[94:95], s[4:5], v[2:3]
	v_fma_f64 v[2:3], v[94:95], s[10:11], v[2:3]
	;; [unrolled: 1-line block ×12, first 2 shown]
	v_add_f64_e32 v[70:71], v[72:73], v[102:103]
	v_add_f64_e32 v[42:43], v[46:47], v[42:43]
	;; [unrolled: 1-line block ×3, first 2 shown]
	v_fma_f64 v[52:53], v[78:79], s[10:11], v[6:7]
	v_add_f64_e32 v[44:45], v[44:45], v[48:49]
	v_add_f64_e32 v[48:49], v[54:55], v[56:57]
	v_fma_f64 v[54:55], v[78:79], s[4:5], v[6:7]
	v_add_f64_e32 v[50:51], v[58:59], v[60:61]
	v_fma_f64 v[56:57], v[98:99], s[10:11], v[8:9]
	v_fma_f64 v[58:59], v[98:99], s[4:5], v[8:9]
	;; [unrolled: 1-line block ×10, first 2 shown]
	ds_store_2addr_b64 v80, v[76:77], v[100:101] offset1:99
	ds_store_2addr_b64 v84, v[2:3], v[15:16] offset0:70 offset1:169
	ds_store_2addr_b64 v91, v[94:95], v[4:5] offset0:140 offset1:239
	;; [unrolled: 1-line block ×6, first 2 shown]
	ds_store_b64 v132, v[17:18] offset:6336
	ds_store_b64 v133, v[19:20] offset:8712
	;; [unrolled: 1-line block ×4, first 2 shown]
	global_wb scope:SCOPE_SE
	s_wait_dscnt 0x0
	s_barrier_signal -1
	s_barrier_wait -1
	global_inv scope:SCOPE_SE
	ds_load_2addr_b64 v[2:5], v80 offset1:99
	ds_load_2addr_b64 v[6:9], v82 offset0:82 offset1:181
	ds_load_2addr_b64 v[10:13], v81 offset0:36 offset1:135
	ds_load_2addr_b64 v[14:17], v84 offset0:70 offset1:169
	ds_load_2addr_b64 v[18:21], v85 offset0:24 offset1:123
	ds_load_2addr_b64 v[22:25], v83 offset0:106 offset1:205
	ds_load_2addr_b64 v[26:29], v91 offset0:140 offset1:239
	ds_load_2addr_b64 v[30:33], v86 offset0:94 offset1:193
	ds_load_2addr_b64 v[34:37], v87 offset0:48 offset1:147
	global_wb scope:SCOPE_SE
	s_wait_dscnt 0x0
	s_barrier_signal -1
	s_barrier_wait -1
	global_inv scope:SCOPE_SE
	ds_store_2addr_b64 v80, v[70:71], v[52:53] offset1:99
	ds_store_2addr_b64 v84, v[54:55], v[42:43] offset0:70 offset1:169
	ds_store_2addr_b64 v91, v[56:57], v[58:59] offset0:140 offset1:239
	;; [unrolled: 1-line block ×6, first 2 shown]
	ds_store_b64 v132, v[72:73] offset:6336
	ds_store_b64 v133, v[104:105] offset:8712
	;; [unrolled: 1-line block ×4, first 2 shown]
	global_wb scope:SCOPE_SE
	s_wait_dscnt 0x0
	s_barrier_signal -1
	s_barrier_wait -1
	global_inv scope:SCOPE_SE
	s_clause 0x5
	global_load_b128 v[42:45], v[0:1], off offset:4576
	global_load_b128 v[46:49], v[0:1], off offset:4592
	;; [unrolled: 1-line block ×6, first 2 shown]
	ds_load_2addr_b64 v[66:69], v82 offset0:82 offset1:181
	ds_load_2addr_b64 v[70:73], v81 offset0:36 offset1:135
	;; [unrolled: 1-line block ×6, first 2 shown]
	v_add_nc_u32_e32 v40, 0x2000, v80
	s_wait_loadcnt_dscnt 0x505
	v_mul_f64_e32 v[0:1], v[66:67], v[44:45]
	s_wait_loadcnt_dscnt 0x404
	v_mul_f64_e32 v[38:39], v[70:71], v[48:49]
	s_wait_loadcnt 0x3
	v_mul_f64_e32 v[78:79], v[68:69], v[52:53]
	s_wait_loadcnt 0x2
	v_mul_f64_e32 v[106:107], v[72:73], v[56:57]
	s_wait_loadcnt_dscnt 0x103
	v_mul_f64_e32 v[108:109], v[74:75], v[60:61]
	s_wait_loadcnt_dscnt 0x2
	v_mul_f64_e32 v[110:111], v[94:95], v[64:65]
	v_mul_f64_e32 v[112:113], v[76:77], v[44:45]
	;; [unrolled: 1-line block ×3, first 2 shown]
	s_wait_dscnt 0x1
	v_mul_f64_e32 v[116:117], v[98:99], v[52:53]
	s_wait_dscnt 0x0
	v_mul_f64_e32 v[118:119], v[102:103], v[56:57]
	v_mul_f64_e32 v[120:121], v[100:101], v[60:61]
	;; [unrolled: 1-line block ×15, first 2 shown]
	v_fma_f64 v[0:1], v[6:7], v[42:43], -v[0:1]
	v_fma_f64 v[38:39], v[10:11], v[46:47], -v[38:39]
	;; [unrolled: 1-line block ×12, first 2 shown]
	v_fma_f64 v[66:67], v[66:67], v[42:43], v[124:125]
	v_fma_f64 v[70:71], v[70:71], v[46:47], v[126:127]
	;; [unrolled: 1-line block ×12, first 2 shown]
	ds_load_2addr_b64 v[6:9], v80 offset1:99
	ds_load_2addr_b64 v[10:13], v84 offset0:70 offset1:169
	ds_load_2addr_b64 v[18:21], v91 offset0:140 offset1:239
	global_wb scope:SCOPE_SE
	s_wait_dscnt 0x0
	s_barrier_signal -1
	s_barrier_wait -1
	global_inv scope:SCOPE_SE
	v_add_f64_e32 v[76:77], v[2:3], v[0:1]
	v_add_f64_e32 v[54:55], v[0:1], v[38:39]
	;; [unrolled: 1-line block ×12, first 2 shown]
	v_add_f64_e64 v[0:1], v[0:1], -v[38:39]
	v_add_f64_e32 v[98:99], v[66:67], v[70:71]
	v_add_f64_e64 v[96:97], v[66:67], -v[70:71]
	v_add_f64_e32 v[102:103], v[68:69], v[72:73]
	;; [unrolled: 2-line block ×4, first 2 shown]
	v_add_f64_e32 v[120:121], v[46:47], v[48:49]
	v_add_f64_e32 v[124:125], v[50:51], v[52:53]
	;; [unrolled: 1-line block ×3, first 2 shown]
	v_fma_f64 v[2:3], v[54:55], -0.5, v[2:3]
	v_add_f64_e64 v[54:55], v[68:69], -v[72:73]
	v_fma_f64 v[4:5], v[56:57], -0.5, v[4:5]
	v_add_f64_e64 v[56:57], v[74:75], -v[94:95]
	;; [unrolled: 2-line block ×5, first 2 shown]
	v_fma_f64 v[28:29], v[64:65], -0.5, v[28:29]
	v_add_f64_e32 v[64:65], v[6:7], v[66:67]
	v_add_f64_e32 v[66:67], v[8:9], v[68:69]
	v_add_f64_e64 v[68:69], v[78:79], -v[106:107]
	v_add_f64_e32 v[74:75], v[10:11], v[74:75]
	v_fma_f64 v[6:7], v[98:99], -0.5, v[6:7]
	v_fma_f64 v[8:9], v[102:103], -0.5, v[8:9]
	v_add_f64_e32 v[50:51], v[20:21], v[50:51]
	v_add_f64_e64 v[78:79], v[108:109], -v[22:23]
	v_fma_f64 v[10:11], v[112:113], -0.5, v[10:11]
	v_add_f64_e32 v[42:43], v[12:13], v[42:43]
	v_add_f64_e64 v[108:109], v[110:111], -v[24:25]
	v_add_f64_e32 v[110:111], v[18:19], v[46:47]
	v_fma_f64 v[12:13], v[116:117], -0.5, v[12:13]
	v_fma_f64 v[18:19], v[120:121], -0.5, v[18:19]
	;; [unrolled: 1-line block ×3, first 2 shown]
	v_add_f64_e32 v[76:77], v[100:101], v[106:107]
	v_add_f64_e32 v[34:35], v[118:119], v[34:35]
	;; [unrolled: 1-line block ×5, first 2 shown]
	v_lshl_add_u32 v47, v90, 3, 0
	v_add_nc_u32_e32 v46, 0x2c00, v80
	s_delay_alu instid0(VALU_DEP_2)
	v_add_nc_u32_e32 v47, 0x1400, v47
	v_fma_f64 v[98:99], v[96:97], s[4:5], v[2:3]
	v_fma_f64 v[2:3], v[96:97], s[10:11], v[2:3]
	;; [unrolled: 1-line block ×12, first 2 shown]
	v_add_f64_e32 v[62:63], v[64:65], v[70:71]
	v_add_f64_e32 v[64:65], v[66:67], v[72:73]
	;; [unrolled: 1-line block ×3, first 2 shown]
	v_fma_f64 v[72:73], v[0:1], s[4:5], v[6:7]
	v_fma_f64 v[74:75], v[68:69], s[10:11], v[8:9]
	v_fma_f64 v[68:69], v[68:69], s[4:5], v[8:9]
	v_add_f64_e32 v[50:51], v[50:51], v[52:53]
	v_fma_f64 v[52:53], v[0:1], s[10:11], v[6:7]
	v_fma_f64 v[94:95], v[78:79], s[10:11], v[10:11]
	v_add_f64_e32 v[70:71], v[42:43], v[44:45]
	v_fma_f64 v[78:79], v[78:79], s[4:5], v[10:11]
	v_fma_f64 v[100:101], v[108:109], s[10:11], v[12:13]
	;; [unrolled: 1-line block ×3, first 2 shown]
	v_add_f64_e32 v[48:49], v[110:111], v[48:49]
	v_fma_f64 v[102:103], v[108:109], s[4:5], v[12:13]
	v_fma_f64 v[108:109], v[32:33], s[10:11], v[20:21]
	;; [unrolled: 1-line block ×4, first 2 shown]
	ds_store_2addr_b64 v80, v[38:39], v[76:77] offset1:99
	ds_store_2addr_b64 v86, v[34:35], v[36:37] offset0:94 offset1:193
	ds_store_2addr_b64 v82, v[2:3], v[4:5] offset0:82 offset1:181
	;; [unrolled: 1-line block ×8, first 2 shown]
	global_wb scope:SCOPE_SE
	s_wait_dscnt 0x0
	s_barrier_signal -1
	s_barrier_wait -1
	global_inv scope:SCOPE_SE
	ds_load_2addr_b64 v[12:15], v80 offset1:99
	ds_load_2addr_b64 v[28:31], v85 offset0:123 offset1:222
	ds_load_2addr_b64 v[8:11], v84 offset0:70 offset1:169
	;; [unrolled: 1-line block ×7, first 2 shown]
	ds_load_b64 v[42:43], v80 offset:4752
	ds_load_b64 v[44:45], v80 offset:13464
	global_wb scope:SCOPE_SE
	s_wait_dscnt 0x0
	s_barrier_signal -1
	s_barrier_wait -1
	global_inv scope:SCOPE_SE
	ds_store_2addr_b64 v80, v[62:63], v[64:65] offset1:99
	ds_store_2addr_b64 v82, v[72:73], v[68:69] offset0:82 offset1:181
	ds_store_2addr_b64 v84, v[66:67], v[52:53] offset0:70 offset1:169
	;; [unrolled: 1-line block ×8, first 2 shown]
	global_wb scope:SCOPE_SE
	s_wait_dscnt 0x0
	s_barrier_signal -1
	s_barrier_wait -1
	global_inv scope:SCOPE_SE
	s_and_saveexec_b32 s0, vcc_lo
	s_cbranch_execz .LBB0_21
; %bb.20:
	v_mov_b32_e32 v91, v41
	v_mul_lo_u32 v117, s3, v92
	v_mul_lo_u32 v118, s2, v93
	v_mad_co_u64_u32 v[111:112], null, s2, v92, 0
	s_delay_alu instid0(VALU_DEP_4)
	v_lshlrev_b64_e32 v[32:33], 4, v[90:91]
	v_add_nc_u32_e32 v85, 0x800, v80
	v_add_nc_u32_e32 v99, 0x2800, v80
	;; [unrolled: 1-line block ×3, first 2 shown]
	v_lshlrev_b64_e32 v[115:116], 4, v[88:89]
	v_add_nc_u32_e32 v89, 0x63, v90
	v_add_co_u32 v72, vcc_lo, s8, v32
	s_wait_alu 0xfffd
	v_add_co_ci_u32_e32 v73, vcc_lo, s9, v33, vcc_lo
	v_add_nc_u32_e32 v119, 0xc6, v90
	v_add_nc_u32_e32 v120, 0x129, v90
	v_add_nc_u32_e32 v123, 0x252, v90
	s_clause 0x8
	global_load_b128 v[32:35], v[72:73], off offset:26752
	global_load_b128 v[36:39], v[72:73], off offset:25168
	;; [unrolled: 1-line block ×9, first 2 shown]
	ds_load_2addr_b64 v[76:79], v47 offset0:53 offset1:152
	ds_load_2addr_b64 v[81:84], v46 offset0:77 offset1:176
	ds_load_b64 v[46:47], v80 offset:13464
	ds_load_b64 v[113:114], v80 offset:4752
	ds_load_2addr_b64 v[91:94], v40 offset0:65 offset1:164
	ds_load_2addr_b64 v[95:98], v80 offset1:99
	v_add_nc_u32_e32 v40, 0x1800, v80
	v_mul_hi_u32 v80, 0x931b4b91, v90
	ds_load_2addr_b64 v[85:88], v85 offset0:140 offset1:239
	ds_load_2addr_b64 v[99:102], v99 offset0:7 offset1:106
	;; [unrolled: 1-line block ×4, first 2 shown]
	v_mul_hi_u32 v40, 0x931b4b91, v89
	v_add_nc_u32_e32 v124, 0x2b5, v90
	v_add_nc_u32_e32 v125, 0x318, v90
	v_mul_hi_u32 v126, 0x931b4b91, v119
	v_add_nc_u32_e32 v121, 0x18c, v90
	v_add_nc_u32_e32 v122, 0x1ef, v90
	v_lshrrev_b32_e32 v80, 9, v80
	v_mul_hi_u32 v127, 0x931b4b91, v120
	v_lshrrev_b32_e32 v40, 9, v40
	v_add3_u32 v112, v112, v118, v117
	v_mul_hi_u32 v117, 0x931b4b91, v123
	v_mul_u32_u24_e32 v80, 0x37b, v80
	v_mul_hi_u32 v118, 0x931b4b91, v124
	v_mul_hi_u32 v130, 0x931b4b91, v125
	;; [unrolled: 1-line block ×4, first 2 shown]
	v_sub_nc_u32_e32 v80, v90, v80
	v_mul_u32_u24_e32 v90, 0x37b, v40
	v_lshrrev_b32_e32 v126, 9, v126
	v_lshlrev_b64_e32 v[111:112], 4, v[111:112]
	v_lshrrev_b32_e32 v139, 9, v127
	v_lshrrev_b32_e32 v145, 9, v117
	v_sub_nc_u32_e32 v89, v89, v90
	v_lshrrev_b32_e32 v146, 9, v118
	v_lshrrev_b32_e32 v147, 9, v130
	v_mul_u32_u24_e32 v117, 0x37b, v126
	v_lshrrev_b32_e32 v143, 9, v128
	v_mad_u32_u24 v40, 0x6f6, v40, v89
	v_lshrrev_b32_e32 v144, 9, v129
	v_mul_u32_u24_e32 v118, 0x37b, v139
	v_mul_u32_u24_e32 v129, 0x37b, v145
	;; [unrolled: 1-line block ×3, first 2 shown]
	v_add_co_u32 v111, vcc_lo, s6, v111
	v_mul_u32_u24_e32 v131, 0x37b, v147
	s_wait_alu 0xfffd
	v_add_co_ci_u32_e32 v112, vcc_lo, s7, v112, vcc_lo
	v_sub_nc_u32_e32 v117, v119, v117
	v_lshlrev_b64_e32 v[89:90], 4, v[40:41]
	v_add_nc_u32_e32 v40, 0x37b, v40
	v_mul_u32_u24_e32 v127, 0x37b, v143
	v_mul_u32_u24_e32 v128, 0x37b, v144
	v_sub_nc_u32_e32 v140, v120, v118
	v_sub_nc_u32_e32 v150, v123, v129
	;; [unrolled: 1-line block ×3, first 2 shown]
	v_add_co_u32 v153, vcc_lo, v111, v115
	v_sub_nc_u32_e32 v152, v125, v131
	s_wait_alu 0xfffd
	v_add_co_ci_u32_e32 v154, vcc_lo, v112, v116, vcc_lo
	v_lshlrev_b64_e32 v[115:116], 4, v[40:41]
	v_mad_u32_u24 v40, 0x6f6, v126, v117
	v_sub_nc_u32_e32 v148, v121, v127
	v_sub_nc_u32_e32 v149, v122, v128
	v_lshlrev_b32_e32 v80, 4, v80
	s_delay_alu instid0(VALU_DEP_4) | instskip(SKIP_1) | instid1(VALU_DEP_3)
	v_lshlrev_b64_e32 v[117:118], 4, v[40:41]
	v_add_nc_u32_e32 v40, 0x37b, v40
	v_add_co_u32 v111, vcc_lo, v153, v80
	s_wait_alu 0xfffd
	v_add_co_ci_u32_e32 v112, vcc_lo, 0, v154, vcc_lo
	s_delay_alu instid0(VALU_DEP_3) | instskip(SKIP_4) | instid1(VALU_DEP_3)
	v_lshlrev_b64_e32 v[137:138], 4, v[40:41]
	v_mad_u32_u24 v40, 0x6f6, v139, v140
	v_add_co_u32 v89, vcc_lo, v153, v89
	s_wait_alu 0xfffd
	v_add_co_ci_u32_e32 v90, vcc_lo, v154, v90, vcc_lo
	v_lshlrev_b64_e32 v[139:140], 4, v[40:41]
	v_add_nc_u32_e32 v40, 0x37b, v40
	v_add_co_u32 v115, vcc_lo, v153, v115
	s_wait_alu 0xfffd
	v_add_co_ci_u32_e32 v116, vcc_lo, v154, v116, vcc_lo
	s_delay_alu instid0(VALU_DEP_3)
	v_lshlrev_b64_e32 v[141:142], 4, v[40:41]
	v_mad_u32_u24 v40, 0x6f6, v143, v148
	v_add_co_u32 v117, vcc_lo, v153, v117
	s_wait_alu 0xfffd
	v_add_co_ci_u32_e32 v118, vcc_lo, v154, v118, vcc_lo
	v_add_co_u32 v137, vcc_lo, v153, v137
	s_wait_alu 0xfffd
	v_add_co_ci_u32_e32 v138, vcc_lo, v154, v138, vcc_lo
	;; [unrolled: 3-line block ×3, first 2 shown]
	s_wait_loadcnt_dscnt 0x807
	v_mul_f64_e32 v[119:120], v[32:33], v[46:47]
	v_mul_f64_e32 v[46:47], v[34:35], v[46:47]
	s_wait_loadcnt_dscnt 0x600
	v_mul_f64_e32 v[123:124], v[48:49], v[107:108]
	v_mul_f64_e32 v[107:108], v[50:51], v[107:108]
	s_wait_loadcnt 0x5
	v_mul_f64_e32 v[125:126], v[52:53], v[109:110]
	v_mul_f64_e32 v[109:110], v[54:55], v[109:110]
	s_wait_loadcnt 0x4
	v_mul_f64_e32 v[127:128], v[56:57], v[91:92]
	v_mul_f64_e32 v[91:92], v[58:59], v[91:92]
	s_wait_loadcnt 0x3
	v_mul_f64_e32 v[129:130], v[60:61], v[93:94]
	v_mul_f64_e32 v[93:94], v[62:63], v[93:94]
	s_wait_loadcnt 0x2
	v_mul_f64_e32 v[131:132], v[64:65], v[99:100]
	v_mul_f64_e32 v[99:100], v[66:67], v[99:100]
	s_wait_loadcnt 0x1
	v_mul_f64_e32 v[133:134], v[68:69], v[101:102]
	v_mul_f64_e32 v[101:102], v[70:71], v[101:102]
	s_wait_loadcnt 0x0
	v_mul_f64_e32 v[135:136], v[72:73], v[81:82]
	v_mul_f64_e32 v[80:81], v[74:75], v[81:82]
	;; [unrolled: 1-line block ×4, first 2 shown]
	v_fma_f64 v[34:35], v[44:45], v[34:35], v[119:120]
	v_fma_f64 v[32:33], v[44:45], v[32:33], -v[46:47]
	v_fma_f64 v[44:45], v[28:29], v[50:51], v[123:124]
	v_fma_f64 v[28:29], v[28:29], v[48:49], -v[107:108]
	;; [unrolled: 2-line block ×9, first 2 shown]
	v_lshlrev_b64_e32 v[16:17], 4, v[40:41]
	v_add_nc_u32_e32 v40, 0x37b, v40
	v_add_co_u32 v80, vcc_lo, v153, v141
	s_wait_alu 0xfffd
	v_add_co_ci_u32_e32 v81, vcc_lo, v154, v142, vcc_lo
	s_delay_alu instid0(VALU_DEP_3) | instskip(SKIP_4) | instid1(VALU_DEP_4)
	v_lshlrev_b64_e32 v[18:19], 4, v[40:41]
	v_add_co_u32 v82, vcc_lo, v153, v16
	s_wait_alu 0xfffd
	v_add_co_ci_u32_e32 v83, vcc_lo, v154, v17, vcc_lo
	v_mad_u32_u24 v40, 0x6f6, v144, v149
	v_add_co_u32 v91, vcc_lo, v153, v18
	s_wait_alu 0xfffd
	v_add_co_ci_u32_e32 v92, vcc_lo, v154, v19, vcc_lo
	s_delay_alu instid0(VALU_DEP_3)
	v_lshlrev_b64_e32 v[72:73], 4, v[40:41]
	v_add_nc_u32_e32 v40, 0x37b, v40
	v_add_f64_e64 v[18:19], v[78:79], -v[34:35]
	v_add_f64_e64 v[16:17], v[2:3], -v[32:33]
	;; [unrolled: 1-line block ×18, first 2 shown]
	v_lshlrev_b64_e32 v[74:75], 4, v[40:41]
	v_mad_u32_u24 v40, 0x6f6, v145, v150
	v_add_co_u32 v93, vcc_lo, v153, v72
	s_wait_alu 0xfffd
	v_add_co_ci_u32_e32 v94, vcc_lo, v154, v73, vcc_lo
	s_delay_alu instid0(VALU_DEP_3) | instskip(SKIP_4) | instid1(VALU_DEP_3)
	v_lshlrev_b64_e32 v[56:57], 4, v[40:41]
	v_add_nc_u32_e32 v40, 0x37b, v40
	v_add_co_u32 v99, vcc_lo, v153, v74
	s_wait_alu 0xfffd
	v_add_co_ci_u32_e32 v100, vcc_lo, v154, v75, vcc_lo
	v_lshlrev_b64_e32 v[58:59], 4, v[40:41]
	v_add_co_u32 v101, vcc_lo, v153, v56
	s_wait_alu 0xfffd
	v_add_co_ci_u32_e32 v102, vcc_lo, v154, v57, vcc_lo
	v_mad_u32_u24 v40, 0x6f6, v146, v151
	s_delay_alu instid0(VALU_DEP_4)
	v_add_co_u32 v109, vcc_lo, v153, v58
	s_wait_alu 0xfffd
	v_add_co_ci_u32_e32 v110, vcc_lo, v154, v59, vcc_lo
	v_fma_f64 v[58:59], v[95:96], 2.0, -v[22:23]
	v_fma_f64 v[56:57], v[12:13], 2.0, -v[20:21]
	;; [unrolled: 1-line block ×16, first 2 shown]
	v_lshlrev_b64_e32 v[107:108], 4, v[40:41]
	v_add_nc_u32_e32 v40, 0x37b, v40
	v_fma_f64 v[78:79], v[78:79], 2.0, -v[18:19]
	v_fma_f64 v[76:77], v[2:3], 2.0, -v[16:17]
	s_delay_alu instid0(VALU_DEP_3) | instskip(SKIP_4) | instid1(VALU_DEP_3)
	v_lshlrev_b64_e32 v[0:1], 4, v[40:41]
	v_mad_u32_u24 v40, 0x6f6, v147, v152
	v_add_co_u32 v2, vcc_lo, v153, v107
	s_wait_alu 0xfffd
	v_add_co_ci_u32_e32 v3, vcc_lo, v154, v108, vcc_lo
	v_lshlrev_b64_e32 v[42:43], 4, v[40:41]
	v_add_nc_u32_e32 v40, 0x37b, v40
	v_add_co_u32 v0, vcc_lo, v153, v0
	s_wait_alu 0xfffd
	v_add_co_ci_u32_e32 v1, vcc_lo, v154, v1, vcc_lo
	s_delay_alu instid0(VALU_DEP_3) | instskip(SKIP_3) | instid1(VALU_DEP_3)
	v_lshlrev_b64_e32 v[40:41], 4, v[40:41]
	v_add_co_u32 v42, vcc_lo, v153, v42
	s_wait_alu 0xfffd
	v_add_co_ci_u32_e32 v43, vcc_lo, v154, v43, vcc_lo
	v_add_co_u32 v40, vcc_lo, v153, v40
	s_wait_alu 0xfffd
	v_add_co_ci_u32_e32 v41, vcc_lo, v154, v41, vcc_lo
	s_clause 0x11
	global_store_b128 v[111:112], v[56:59], off
	global_store_b128 v[111:112], v[20:23], off offset:14256
	global_store_b128 v[89:90], v[60:63], off
	global_store_b128 v[115:116], v[24:27], off
	;; [unrolled: 1-line block ×16, first 2 shown]
.LBB0_21:
	s_nop 0
	s_sendmsg sendmsg(MSG_DEALLOC_VGPRS)
	s_endpgm
	.section	.rodata,"a",@progbits
	.p2align	6, 0x0
	.amdhsa_kernel fft_rtc_fwd_len1782_factors_11_3_3_3_3_2_wgs_99_tpt_99_halfLds_dp_op_CI_CI_unitstride_sbrr_dirReg
		.amdhsa_group_segment_fixed_size 0
		.amdhsa_private_segment_fixed_size 0
		.amdhsa_kernarg_size 104
		.amdhsa_user_sgpr_count 2
		.amdhsa_user_sgpr_dispatch_ptr 0
		.amdhsa_user_sgpr_queue_ptr 0
		.amdhsa_user_sgpr_kernarg_segment_ptr 1
		.amdhsa_user_sgpr_dispatch_id 0
		.amdhsa_user_sgpr_private_segment_size 0
		.amdhsa_wavefront_size32 1
		.amdhsa_uses_dynamic_stack 0
		.amdhsa_enable_private_segment 0
		.amdhsa_system_sgpr_workgroup_id_x 1
		.amdhsa_system_sgpr_workgroup_id_y 0
		.amdhsa_system_sgpr_workgroup_id_z 0
		.amdhsa_system_sgpr_workgroup_info 0
		.amdhsa_system_vgpr_workitem_id 0
		.amdhsa_next_free_vgpr 182
		.amdhsa_next_free_sgpr 39
		.amdhsa_reserve_vcc 1
		.amdhsa_float_round_mode_32 0
		.amdhsa_float_round_mode_16_64 0
		.amdhsa_float_denorm_mode_32 3
		.amdhsa_float_denorm_mode_16_64 3
		.amdhsa_fp16_overflow 0
		.amdhsa_workgroup_processor_mode 1
		.amdhsa_memory_ordered 1
		.amdhsa_forward_progress 0
		.amdhsa_round_robin_scheduling 0
		.amdhsa_exception_fp_ieee_invalid_op 0
		.amdhsa_exception_fp_denorm_src 0
		.amdhsa_exception_fp_ieee_div_zero 0
		.amdhsa_exception_fp_ieee_overflow 0
		.amdhsa_exception_fp_ieee_underflow 0
		.amdhsa_exception_fp_ieee_inexact 0
		.amdhsa_exception_int_div_zero 0
	.end_amdhsa_kernel
	.text
.Lfunc_end0:
	.size	fft_rtc_fwd_len1782_factors_11_3_3_3_3_2_wgs_99_tpt_99_halfLds_dp_op_CI_CI_unitstride_sbrr_dirReg, .Lfunc_end0-fft_rtc_fwd_len1782_factors_11_3_3_3_3_2_wgs_99_tpt_99_halfLds_dp_op_CI_CI_unitstride_sbrr_dirReg
                                        ; -- End function
	.section	.AMDGPU.csdata,"",@progbits
; Kernel info:
; codeLenInByte = 15080
; NumSgprs: 41
; NumVgprs: 182
; ScratchSize: 0
; MemoryBound: 1
; FloatMode: 240
; IeeeMode: 1
; LDSByteSize: 0 bytes/workgroup (compile time only)
; SGPRBlocks: 5
; VGPRBlocks: 22
; NumSGPRsForWavesPerEU: 41
; NumVGPRsForWavesPerEU: 182
; Occupancy: 8
; WaveLimiterHint : 1
; COMPUTE_PGM_RSRC2:SCRATCH_EN: 0
; COMPUTE_PGM_RSRC2:USER_SGPR: 2
; COMPUTE_PGM_RSRC2:TRAP_HANDLER: 0
; COMPUTE_PGM_RSRC2:TGID_X_EN: 1
; COMPUTE_PGM_RSRC2:TGID_Y_EN: 0
; COMPUTE_PGM_RSRC2:TGID_Z_EN: 0
; COMPUTE_PGM_RSRC2:TIDIG_COMP_CNT: 0
	.text
	.p2alignl 7, 3214868480
	.fill 96, 4, 3214868480
	.type	__hip_cuid_e486773f649d4845,@object ; @__hip_cuid_e486773f649d4845
	.section	.bss,"aw",@nobits
	.globl	__hip_cuid_e486773f649d4845
__hip_cuid_e486773f649d4845:
	.byte	0                               ; 0x0
	.size	__hip_cuid_e486773f649d4845, 1

	.ident	"AMD clang version 19.0.0git (https://github.com/RadeonOpenCompute/llvm-project roc-6.4.0 25133 c7fe45cf4b819c5991fe208aaa96edf142730f1d)"
	.section	".note.GNU-stack","",@progbits
	.addrsig
	.addrsig_sym __hip_cuid_e486773f649d4845
	.amdgpu_metadata
---
amdhsa.kernels:
  - .args:
      - .actual_access:  read_only
        .address_space:  global
        .offset:         0
        .size:           8
        .value_kind:     global_buffer
      - .offset:         8
        .size:           8
        .value_kind:     by_value
      - .actual_access:  read_only
        .address_space:  global
        .offset:         16
        .size:           8
        .value_kind:     global_buffer
      - .actual_access:  read_only
        .address_space:  global
        .offset:         24
        .size:           8
        .value_kind:     global_buffer
      - .actual_access:  read_only
        .address_space:  global
        .offset:         32
        .size:           8
        .value_kind:     global_buffer
      - .offset:         40
        .size:           8
        .value_kind:     by_value
      - .actual_access:  read_only
        .address_space:  global
        .offset:         48
        .size:           8
        .value_kind:     global_buffer
      - .actual_access:  read_only
        .address_space:  global
        .offset:         56
        .size:           8
        .value_kind:     global_buffer
      - .offset:         64
        .size:           4
        .value_kind:     by_value
      - .actual_access:  read_only
        .address_space:  global
        .offset:         72
        .size:           8
        .value_kind:     global_buffer
      - .actual_access:  read_only
        .address_space:  global
        .offset:         80
        .size:           8
        .value_kind:     global_buffer
      - .actual_access:  read_only
        .address_space:  global
        .offset:         88
        .size:           8
        .value_kind:     global_buffer
      - .actual_access:  write_only
        .address_space:  global
        .offset:         96
        .size:           8
        .value_kind:     global_buffer
    .group_segment_fixed_size: 0
    .kernarg_segment_align: 8
    .kernarg_segment_size: 104
    .language:       OpenCL C
    .language_version:
      - 2
      - 0
    .max_flat_workgroup_size: 99
    .name:           fft_rtc_fwd_len1782_factors_11_3_3_3_3_2_wgs_99_tpt_99_halfLds_dp_op_CI_CI_unitstride_sbrr_dirReg
    .private_segment_fixed_size: 0
    .sgpr_count:     41
    .sgpr_spill_count: 0
    .symbol:         fft_rtc_fwd_len1782_factors_11_3_3_3_3_2_wgs_99_tpt_99_halfLds_dp_op_CI_CI_unitstride_sbrr_dirReg.kd
    .uniform_work_group_size: 1
    .uses_dynamic_stack: false
    .vgpr_count:     182
    .vgpr_spill_count: 0
    .wavefront_size: 32
    .workgroup_processor_mode: 1
amdhsa.target:   amdgcn-amd-amdhsa--gfx1201
amdhsa.version:
  - 1
  - 2
...

	.end_amdgpu_metadata
